;; amdgpu-corpus repo=zjin-lcf/HeCBench kind=compiled arch=gfx1250 opt=O3
	.amdgcn_target "amdgcn-amd-amdhsa--gfx1250"
	.amdhsa_code_object_version 6
	.text
	.protected	_Z6InputsPiPN2rw3CutEi  ; -- Begin function _Z6InputsPiPN2rw3CutEi
	.globl	_Z6InputsPiPN2rw3CutEi
	.p2align	8
	.type	_Z6InputsPiPN2rw3CutEi,@function
_Z6InputsPiPN2rw3CutEi:                 ; @_Z6InputsPiPN2rw3CutEi
; %bb.0:
	s_clause 0x1
	s_load_b32 s2, s[0:1], 0x24
	s_load_b32 s3, s[0:1], 0x10
	s_bfe_u32 s4, ttmp6, 0x4000c
	s_and_b32 s5, ttmp6, 15
	s_add_co_i32 s4, s4, 1
	s_getreg_b32 s6, hwreg(HW_REG_IB_STS2, 6, 4)
	s_mul_i32 s4, ttmp9, s4
	s_delay_alu instid0(SALU_CYCLE_1) | instskip(SKIP_4) | instid1(SALU_CYCLE_1)
	s_add_co_i32 s5, s5, s4
	s_wait_kmcnt 0x0
	s_and_b32 s2, s2, 0xffff
	s_cmp_eq_u32 s6, 0
	s_cselect_b32 s4, ttmp9, s5
	s_mul_i32 s4, s4, s2
	s_mov_b32 s2, exec_lo
	v_add3_u32 v1, v0, s4, 1
	s_delay_alu instid0(VALU_DEP_1)
	v_cmpx_ge_i32_e64 s3, v1
	s_cbranch_execz .LBB0_2
; %bb.1:
	s_load_b64 s[0:1], s[0:1], 0x8
	v_dual_mov_b32 v5, 1 :: v_dual_lshlrev_b32 v0, 3, v1
	s_wait_kmcnt 0x0
	s_delay_alu instid0(VALU_DEP_1)
	v_mad_nc_i64_i32 v[2:3], v0, 28, s[0:1]
	v_lshlrev_b32_e64 v0, v1, 1
	s_brev_b32 s0, 1
	global_load_b32 v4, v[2:3], off offset:20
	s_wait_loadcnt 0x0
	v_and_or_b32 v4, v4, s0, 0xbe9aaaa
	s_clause 0x2
	global_store_b64 v[2:3], v[0:1], off
	global_store_b8 v[2:3], v5, off offset:24
	global_store_b32 v[2:3], v4, off offset:20
.LBB0_2:
	s_endpgm
	.section	.rodata,"a",@progbits
	.p2align	6, 0x0
	.amdhsa_kernel _Z6InputsPiPN2rw3CutEi
		.amdhsa_group_segment_fixed_size 0
		.amdhsa_private_segment_fixed_size 0
		.amdhsa_kernarg_size 280
		.amdhsa_user_sgpr_count 2
		.amdhsa_user_sgpr_dispatch_ptr 0
		.amdhsa_user_sgpr_queue_ptr 0
		.amdhsa_user_sgpr_kernarg_segment_ptr 1
		.amdhsa_user_sgpr_dispatch_id 0
		.amdhsa_user_sgpr_kernarg_preload_length 0
		.amdhsa_user_sgpr_kernarg_preload_offset 0
		.amdhsa_user_sgpr_private_segment_size 0
		.amdhsa_wavefront_size32 1
		.amdhsa_uses_dynamic_stack 0
		.amdhsa_enable_private_segment 0
		.amdhsa_system_sgpr_workgroup_id_x 1
		.amdhsa_system_sgpr_workgroup_id_y 0
		.amdhsa_system_sgpr_workgroup_id_z 0
		.amdhsa_system_sgpr_workgroup_info 0
		.amdhsa_system_vgpr_workitem_id 0
		.amdhsa_next_free_vgpr 6
		.amdhsa_next_free_sgpr 7
		.amdhsa_named_barrier_count 0
		.amdhsa_reserve_vcc 0
		.amdhsa_float_round_mode_32 0
		.amdhsa_float_round_mode_16_64 0
		.amdhsa_float_denorm_mode_32 3
		.amdhsa_float_denorm_mode_16_64 3
		.amdhsa_fp16_overflow 0
		.amdhsa_memory_ordered 1
		.amdhsa_forward_progress 1
		.amdhsa_inst_pref_size 2
		.amdhsa_round_robin_scheduling 0
		.amdhsa_exception_fp_ieee_invalid_op 0
		.amdhsa_exception_fp_denorm_src 0
		.amdhsa_exception_fp_ieee_div_zero 0
		.amdhsa_exception_fp_ieee_overflow 0
		.amdhsa_exception_fp_ieee_underflow 0
		.amdhsa_exception_fp_ieee_inexact 0
		.amdhsa_exception_int_div_zero 0
	.end_amdhsa_kernel
	.text
.Lfunc_end0:
	.size	_Z6InputsPiPN2rw3CutEi, .Lfunc_end0-_Z6InputsPiPN2rw3CutEi
                                        ; -- End function
	.set _Z6InputsPiPN2rw3CutEi.num_vgpr, 6
	.set _Z6InputsPiPN2rw3CutEi.num_agpr, 0
	.set _Z6InputsPiPN2rw3CutEi.numbered_sgpr, 7
	.set _Z6InputsPiPN2rw3CutEi.num_named_barrier, 0
	.set _Z6InputsPiPN2rw3CutEi.private_seg_size, 0
	.set _Z6InputsPiPN2rw3CutEi.uses_vcc, 0
	.set _Z6InputsPiPN2rw3CutEi.uses_flat_scratch, 0
	.set _Z6InputsPiPN2rw3CutEi.has_dyn_sized_stack, 0
	.set _Z6InputsPiPN2rw3CutEi.has_recursion, 0
	.set _Z6InputsPiPN2rw3CutEi.has_indirect_call, 0
	.section	.AMDGPU.csdata,"",@progbits
; Kernel info:
; codeLenInByte = 220
; TotalNumSgprs: 7
; NumVgprs: 6
; ScratchSize: 0
; MemoryBound: 0
; FloatMode: 240
; IeeeMode: 1
; LDSByteSize: 0 bytes/workgroup (compile time only)
; SGPRBlocks: 0
; VGPRBlocks: 0
; NumSGPRsForWavesPerEU: 7
; NumVGPRsForWavesPerEU: 6
; NamedBarCnt: 0
; Occupancy: 16
; WaveLimiterHint : 0
; COMPUTE_PGM_RSRC2:SCRATCH_EN: 0
; COMPUTE_PGM_RSRC2:USER_SGPR: 2
; COMPUTE_PGM_RSRC2:TRAP_HANDLER: 0
; COMPUTE_PGM_RSRC2:TGID_X_EN: 1
; COMPUTE_PGM_RSRC2:TGID_Y_EN: 0
; COMPUTE_PGM_RSRC2:TGID_Z_EN: 0
; COMPUTE_PGM_RSRC2:TIDIG_COMP_CNT: 0
	.text
	.protected	_Z12CutEnumeratePiS_S_S_S_PN2rw3CutEii ; -- Begin function _Z12CutEnumeratePiS_S_S_S_PN2rw3CutEii
	.globl	_Z12CutEnumeratePiS_S_S_S_PN2rw3CutEii
	.p2align	8
	.type	_Z12CutEnumeratePiS_S_S_S_PN2rw3CutEii,@function
_Z12CutEnumeratePiS_S_S_S_PN2rw3CutEii: ; @_Z12CutEnumeratePiS_S_S_S_PN2rw3CutEii
; %bb.0:
	s_clause 0x1
	s_load_b32 s4, s[2:3], 0x44
	s_load_b64 s[16:17], s[2:3], 0x30
	s_bfe_u32 s5, ttmp6, 0x4000c
	s_and_b32 s6, ttmp6, 15
	s_add_co_i32 s5, s5, 1
	s_getreg_b32 s7, hwreg(HW_REG_IB_STS2, 6, 4)
	s_mul_i32 s5, ttmp9, s5
	v_and_b32_e32 v1, 0x3ff, v0
	s_add_co_i32 s6, s6, s5
	s_mov_b32 s18, 0
	s_wait_kmcnt 0x0
	s_and_b32 s4, s4, 0xffff
	s_cmp_eq_u32 s7, 0
	s_cselect_b32 s5, ttmp9, s6
	s_delay_alu instid0(SALU_CYCLE_1) | instskip(SKIP_1) | instid1(VALU_DEP_1)
	v_mad_u32 v2, s5, s4, v1
	s_mov_b32 s4, exec_lo
	v_cmpx_gt_i32_e64 s17, v2
	s_cbranch_execz .LBB1_504
; %bb.1:
	s_load_b128 s[12:15], s[2:3], 0x20
	v_add3_u32 v5, s16, 1, v2
	s_load_b256 s[4:11], s[2:3], 0x0
	s_ashr_i32 s17, s16, 31
	s_wait_xcnt 0x0
	s_brev_b32 s2, 1
	v_dual_mov_b32 v28, 1 :: v_dual_lshlrev_b32 v3, 3, v5
	v_lshlrev_b32_e64 v4, v5, 1
	v_mov_b32_e32 v38, 0
	s_wait_kmcnt 0x0
	s_delay_alu instid0(VALU_DEP_3) | instskip(SKIP_1) | instid1(VALU_DEP_1)
	v_mad_nc_i64_i32 v[12:13], v3, 28, s[14:15]
	v_ashrrev_i32_e32 v3, 31, v2
	v_add_nc_u64_e32 v[2:3], s[16:17], v[2:3]
	global_load_b32 v10, v[12:13], off offset:20
	v_add_nc_u64_e32 v[18:19], 4, v[12:13]
	v_lshlrev_b64_e32 v[2:3], 2, v[2:3]
	s_delay_alu instid0(VALU_DEP_1)
	v_add_nc_u64_e32 v[6:7], s[4:5], v[2:3]
	v_add_nc_u64_e32 v[8:9], s[6:7], v[2:3]
	;; [unrolled: 1-line block ×4, first 2 shown]
	s_movk_i32 s4, 0x58
	s_movk_i32 s5, 0x58
	s_movk_i32 s6, 0xac
	s_movk_i32 s7, 0xc8
	s_mov_b32 s8, 32
	s_mov_b32 s9, 60
	;; [unrolled: 1-line block ×3, first 2 shown]
	s_wait_loadcnt 0x0
	v_and_or_b32 v10, v10, s2, 0xbe9aaaa
	s_clause 0x2
	global_store_b64 v[12:13], v[4:5], off
	global_store_b8 v[12:13], v28, off offset:24
	global_store_b32 v[12:13], v10, off offset:20
	global_load_b32 v4, v[6:7], off offset:4
	global_load_b32 v5, v[8:9], off offset:4
	s_load_b64 s[2:3], s[0:1], 0x4
	v_bfe_u32 v6, v0, 10, 10
	v_bfe_u32 v0, v0, 20, 10
	s_wait_kmcnt 0x0
	s_lshr_b32 s0, s2, 16
	s_delay_alu instid0(VALU_DEP_2) | instskip(SKIP_1) | instid1(SALU_CYCLE_1)
	v_mul_u32_u24_e32 v6, s3, v6
	s_mul_i32 s0, s0, s3
	v_mul_lo_u32 v1, s0, v1
	s_delay_alu instid0(VALU_DEP_1) | instskip(NEXT) | instid1(VALU_DEP_1)
	v_add3_u32 v0, v1, v6, v0
	v_mul_lo_u32 v1, v0, 28
	v_lshl_add_u32 v29, v0, 1, v0
	s_delay_alu instid0(VALU_DEP_2)
	v_add_nc_u32_e32 v30, 0x1cc00, v1
	v_add_nc_u32_e32 v31, 0x15c00, v1
	;; [unrolled: 1-line block ×6, first 2 shown]
	s_wait_loadcnt 0x0
	v_dual_lshlrev_b32 v36, 3, v4 :: v_dual_lshlrev_b32 v37, 3, v5
	s_branch .LBB1_3
.LBB1_2:                                ;   in Loop: Header=BB1_3 Depth=1
	s_or_b32 exec_lo, exec_lo, s2
	s_delay_alu instid0(SALU_CYCLE_1) | instskip(NEXT) | instid1(SALU_CYCLE_1)
	s_and_b32 s0, exec_lo, s1
	s_or_b32 s18, s0, s18
	s_delay_alu instid0(SALU_CYCLE_1)
	s_and_not1_b32 exec_lo, exec_lo, s18
	s_cbranch_execz .LBB1_504
.LBB1_3:                                ; =>This Loop Header: Depth=1
                                        ;     Child Loop BB1_6 Depth 2
                                        ;       Child Loop BB1_185 Depth 3
                                        ;         Child Loop BB1_193 Depth 4
                                        ;           Child Loop BB1_194 Depth 5
                                        ;         Child Loop BB1_209 Depth 4
                                        ;           Child Loop BB1_210 Depth 5
                                        ;       Child Loop BB1_264 Depth 3
                                        ;         Child Loop BB1_266 Depth 4
                                        ;       Child Loop BB1_312 Depth 3
                                        ;       Child Loop BB1_360 Depth 3
	;; [unrolled: 1-line block ×3, first 2 shown]
                                        ;         Child Loop BB1_380 Depth 4
                                        ;       Child Loop BB1_388 Depth 3
                                        ;       Child Loop BB1_404 Depth 3
	;; [unrolled: 1-line block ×6, first 2 shown]
                                        ;         Child Loop BB1_453 Depth 4
                                        ;           Child Loop BB1_454 Depth 5
                                        ;         Child Loop BB1_469 Depth 4
                                        ;           Child Loop BB1_470 Depth 5
                                        ;       Child Loop BB1_489 Depth 3
	s_wait_loadcnt 0x0
	s_delay_alu instid0(VALU_DEP_1) | instskip(SKIP_2) | instid1(VALU_DEP_1)
	v_add_nc_u32_e32 v0, s10, v36
	s_mov_b32 s0, -1
	s_mov_b32 s11, exec_lo
	v_mad_nc_i64_i32 v[20:21], v0, 28, s[14:15]
	global_load_u8 v0, v[20:21], off offset:24
	s_wait_loadcnt 0x0
	v_and_b32_e32 v0, 1, v0
	s_wait_xcnt 0x0
	s_delay_alu instid0(VALU_DEP_1)
	v_cmpx_eq_u32_e32 1, v0
	s_cbranch_execz .LBB1_502
; %bb.4:                                ;   in Loop: Header=BB1_3 Depth=1
	s_mov_b32 s16, 0
	s_mov_b32 s17, 0
                                        ; implicit-def: $sgpr19
	s_branch .LBB1_6
.LBB1_5:                                ;   in Loop: Header=BB1_6 Depth=2
	s_or_b32 exec_lo, exec_lo, s1
	s_xor_b32 s0, s0, -1
	s_and_b32 s1, exec_lo, s20
	s_delay_alu instid0(SALU_CYCLE_1) | instskip(SKIP_2) | instid1(SALU_CYCLE_1)
	s_or_b32 s16, s1, s16
	s_and_not1_b32 s1, s19, exec_lo
	s_and_b32 s0, s0, exec_lo
	s_or_b32 s19, s1, s0
	s_and_not1_b32 exec_lo, exec_lo, s16
	s_cbranch_execz .LBB1_501
.LBB1_6:                                ;   Parent Loop BB1_3 Depth=1
                                        ; =>  This Loop Header: Depth=2
                                        ;       Child Loop BB1_185 Depth 3
                                        ;         Child Loop BB1_193 Depth 4
                                        ;           Child Loop BB1_194 Depth 5
                                        ;         Child Loop BB1_209 Depth 4
                                        ;           Child Loop BB1_210 Depth 5
                                        ;       Child Loop BB1_264 Depth 3
                                        ;         Child Loop BB1_266 Depth 4
                                        ;       Child Loop BB1_312 Depth 3
                                        ;       Child Loop BB1_360 Depth 3
	;; [unrolled: 1-line block ×3, first 2 shown]
                                        ;         Child Loop BB1_380 Depth 4
                                        ;       Child Loop BB1_388 Depth 3
                                        ;       Child Loop BB1_404 Depth 3
	;; [unrolled: 1-line block ×6, first 2 shown]
                                        ;         Child Loop BB1_453 Depth 4
                                        ;           Child Loop BB1_454 Depth 5
                                        ;         Child Loop BB1_469 Depth 4
                                        ;           Child Loop BB1_470 Depth 5
                                        ;       Child Loop BB1_489 Depth 3
	s_wait_loadcnt 0x0
	v_add_nc_u32_e32 v0, s17, v37
	s_mov_b32 s20, -1
	s_mov_b32 s2, -1
	s_mov_b32 s21, exec_lo
	s_delay_alu instid0(VALU_DEP_1) | instskip(SKIP_4) | instid1(VALU_DEP_1)
	v_mad_nc_i64_i32 v[8:9], v0, 28, s[14:15]
	global_load_u8 v0, v[8:9], off offset:24
	s_wait_loadcnt 0x0
	v_and_b32_e32 v0, 1, v0
	s_wait_xcnt 0x0
	v_cmpx_eq_u32_e32 1, v0
	s_cbranch_execz .LBB1_499
; %bb.7:                                ;   in Loop: Header=BB1_6 Depth=2
	s_clause 0x5
	global_load_b128 v[0:3], v[8:9], off
	global_load_b128 v[4:7], v[20:21], off
	global_load_b64 v[26:27], v[20:21], off offset:16
	global_load_u16 v11, v[8:9], off offset:25
	global_load_u8 v22, v[8:9], off offset:27
	global_load_b64 v[24:25], v[8:9], off offset:16
	s_mov_b32 s22, exec_lo
	s_wait_loadcnt 0x2
	ds_store_b16 v29, v11
	s_wait_loadcnt 0x1
	ds_store_b8 v29, v22 offset:2
	v_or_b32_e32 v10, v0, v4
	v_bitop3_b32 v0, v0, 0x55555555, v4 bitop3:0xc8
	s_wait_xcnt 0x0
	s_delay_alu instid0(VALU_DEP_2) | instskip(NEXT) | instid1(VALU_DEP_1)
	v_lshrrev_b32_e32 v8, 1, v10
	v_and_b32_e32 v4, 0x55555555, v8
	s_delay_alu instid0(VALU_DEP_1) | instskip(NEXT) | instid1(VALU_DEP_1)
	v_dual_mov_b32 v8, 7 :: v_dual_add_nc_u32 v0, v4, v0
	v_lshrrev_b32_e32 v4, 2, v0
	v_and_b32_e32 v0, 0x33333333, v0
	s_delay_alu instid0(VALU_DEP_2) | instskip(NEXT) | instid1(VALU_DEP_1)
	v_and_b32_e32 v4, 0x33333333, v4
	v_add_nc_u32_e32 v0, v4, v0
	s_delay_alu instid0(VALU_DEP_1) | instskip(SKIP_1) | instid1(VALU_DEP_2)
	v_lshrrev_b32_e32 v4, 4, v0
	v_and_b32_e32 v0, 0x7070707, v0
	v_and_b32_e32 v4, 0x7070707, v4
	s_delay_alu instid0(VALU_DEP_1) | instskip(NEXT) | instid1(VALU_DEP_1)
	v_add_nc_u32_e32 v0, v4, v0
	v_lshrrev_b32_e32 v4, 8, v0
	v_and_b32_e32 v0, 0xf000f, v0
	s_delay_alu instid0(VALU_DEP_2) | instskip(NEXT) | instid1(VALU_DEP_1)
	v_and_b32_e32 v4, 0xf000f, v4
	v_add_nc_u32_e32 v0, v4, v0
	s_delay_alu instid0(VALU_DEP_1) | instskip(NEXT) | instid1(VALU_DEP_1)
	v_dual_lshrrev_b32 v0, 16, v0 :: v_dual_bitop2_b32 v4, 31, v0 bitop3:0x40
	v_add_nc_u32_e32 v0, v4, v0
	s_delay_alu instid0(VALU_DEP_1)
	v_cmpx_gt_u32_e32 5, v0
	s_cbranch_execz .LBB1_496
; %bb.8:                                ;   in Loop: Header=BB1_6 Depth=2
	s_clause 0x1
	global_load_u8 v4, v[12:13], off offset:24
	global_load_u8 v0, v[20:21], off offset:24
	s_wait_loadcnt 0x1
	v_cmp_ne_u16_e32 vcc_lo, 0, v4
	v_mov_b32_e32 v4, 0
	s_wait_xcnt 0x0
	s_and_saveexec_b32 s1, vcc_lo
	s_cbranch_execz .LBB1_154
; %bb.9:                                ;   in Loop: Header=BB1_6 Depth=2
	global_load_u8 v4, v[12:13], off offset:52
	s_wait_loadcnt 0x0
	v_cmp_ne_u16_e32 vcc_lo, 0, v4
	v_mov_b32_e32 v4, 1
	s_wait_xcnt 0x0
	s_and_saveexec_b32 s2, vcc_lo
	s_cbranch_execz .LBB1_153
; %bb.10:                               ;   in Loop: Header=BB1_6 Depth=2
	global_load_u8 v4, v[12:13], off offset:80
	s_wait_loadcnt 0x0
	v_cmp_ne_u16_e32 vcc_lo, 0, v4
	v_mov_b32_e32 v4, 2
	s_wait_xcnt 0x0
	s_and_saveexec_b32 s3, vcc_lo
	s_cbranch_execz .LBB1_152
; %bb.11:                               ;   in Loop: Header=BB1_6 Depth=2
	;; [unrolled: 8-line block ×7, first 2 shown]
	s_clause 0x1
	global_load_b32 v8, v[12:13], off offset:20
	global_load_b32 v9, v[12:13], off offset:48
	s_mov_b32 s28, exec_lo
	s_wait_loadcnt 0x1
	v_and_b32_e32 v43, 0x78000000, v8
	s_wait_loadcnt 0x0
	v_and_b32_e32 v42, 0x78000000, v9
	s_delay_alu instid0(VALU_DEP_2) | instskip(SKIP_1) | instid1(VALU_DEP_2)
	v_cmp_gt_u32_e64 s29, 0x10000001, v43
	v_cmp_lt_u32_e32 vcc_lo, 0x10000000, v43
	v_cndmask_b32_e64 v4, 0, -1, s29
	s_wait_xcnt 0x0
	v_cmpx_lt_u32_e32 0x10000000, v42
	s_cbranch_execz .LBB1_22
; %bb.17:                               ;   in Loop: Header=BB1_6 Depth=2
	s_and_saveexec_b32 s0, vcc_lo
; %bb.18:                               ;   in Loop: Header=BB1_6 Depth=2
	v_bfe_u32 v4, v9, 16, 11
	v_bfe_u32 v11, v8, 16, 11
	s_and_not1_b32 s29, s29, exec_lo
	s_delay_alu instid0(VALU_DEP_1) | instskip(SKIP_1) | instid1(SALU_CYCLE_1)
	v_cmp_lt_u32_e32 vcc_lo, v4, v11
	s_and_b32 s30, vcc_lo, exec_lo
	s_or_b32 s29, s29, s30
; %bb.19:                               ;   in Loop: Header=BB1_6 Depth=2
	s_or_b32 exec_lo, exec_lo, s0
	v_mov_b32_e32 v4, 0
	s_and_saveexec_b32 s0, s29
; %bb.20:                               ;   in Loop: Header=BB1_6 Depth=2
	v_mov_b32_e32 v4, 1
; %bb.21:                               ;   in Loop: Header=BB1_6 Depth=2
	s_or_b32 exec_lo, exec_lo, s0
.LBB1_22:                               ;   in Loop: Header=BB1_6 Depth=2
	s_delay_alu instid0(SALU_CYCLE_1)
	s_or_b32 exec_lo, exec_lo, s28
	global_load_b32 v11, v[12:13], off offset:76
	s_mov_b32 s0, exec_lo
	s_wait_loadcnt 0x0
	v_and_b32_e32 v44, 0x78000000, v11
	s_wait_xcnt 0x0
	s_delay_alu instid0(VALU_DEP_1)
	v_cmpx_lt_u32_e32 0x10000000, v44
	s_cbranch_execz .LBB1_28
; %bb.23:                               ;   in Loop: Header=BB1_6 Depth=2
	v_cmp_eq_u32_e64 s28, -1, v4
	s_mov_b32 s29, exec_lo
	v_cmpx_ne_u32_e32 -1, v4
	s_cbranch_execz .LBB1_25
; %bb.24:                               ;   in Loop: Header=BB1_6 Depth=2
	v_mad_nc_i64_i32 v[22:23], v4, 28, v[12:13]
	s_and_not1_b32 s28, s28, exec_lo
	global_load_b32 v22, v[22:23], off offset:20
	s_wait_xcnt 0x0
	v_bfe_u32 v23, v11, 16, 11
	s_wait_loadcnt 0x0
	v_bfe_u32 v22, v22, 16, 11
	s_delay_alu instid0(VALU_DEP_1) | instskip(SKIP_1) | instid1(SALU_CYCLE_1)
	v_cmp_lt_u32_e32 vcc_lo, v23, v22
	s_and_b32 s30, vcc_lo, exec_lo
	s_or_b32 s28, s28, s30
.LBB1_25:                               ;   in Loop: Header=BB1_6 Depth=2
	s_or_b32 exec_lo, exec_lo, s29
	s_and_saveexec_b32 s29, s28
; %bb.26:                               ;   in Loop: Header=BB1_6 Depth=2
	v_mov_b32_e32 v4, 2
; %bb.27:                               ;   in Loop: Header=BB1_6 Depth=2
	s_or_b32 exec_lo, exec_lo, s29
.LBB1_28:                               ;   in Loop: Header=BB1_6 Depth=2
	s_delay_alu instid0(SALU_CYCLE_1)
	s_or_b32 exec_lo, exec_lo, s0
	global_load_b32 v22, v[12:13], off offset:104
	s_mov_b32 s0, exec_lo
	s_wait_loadcnt 0x0
	v_and_b32_e32 v45, 0x78000000, v22
	s_wait_xcnt 0x0
	s_delay_alu instid0(VALU_DEP_1)
	v_cmpx_lt_u32_e32 0x10000000, v45
	s_cbranch_execz .LBB1_34
; %bb.29:                               ;   in Loop: Header=BB1_6 Depth=2
	v_cmp_eq_u32_e64 s28, -1, v4
	s_mov_b32 s29, exec_lo
	v_cmpx_ne_u32_e32 -1, v4
	s_cbranch_execz .LBB1_31
; %bb.30:                               ;   in Loop: Header=BB1_6 Depth=2
	v_mad_nc_i64_i32 v[40:41], v4, 28, v[12:13]
	v_bfe_u32 v39, v22, 16, 11
	s_and_not1_b32 s28, s28, exec_lo
	global_load_b32 v23, v[40:41], off offset:20
	s_wait_loadcnt 0x0
	v_bfe_u32 v23, v23, 16, 11
	s_delay_alu instid0(VALU_DEP_1) | instskip(SKIP_1) | instid1(SALU_CYCLE_1)
	v_cmp_lt_u32_e32 vcc_lo, v39, v23
	s_and_b32 s30, vcc_lo, exec_lo
	s_or_b32 s28, s28, s30
.LBB1_31:                               ;   in Loop: Header=BB1_6 Depth=2
	s_wait_xcnt 0x0
	s_or_b32 exec_lo, exec_lo, s29
	s_and_saveexec_b32 s29, s28
; %bb.32:                               ;   in Loop: Header=BB1_6 Depth=2
	v_mov_b32_e32 v4, 3
; %bb.33:                               ;   in Loop: Header=BB1_6 Depth=2
	s_or_b32 exec_lo, exec_lo, s29
.LBB1_34:                               ;   in Loop: Header=BB1_6 Depth=2
	s_delay_alu instid0(SALU_CYCLE_1)
	s_or_b32 exec_lo, exec_lo, s0
	global_load_b32 v23, v[12:13], off offset:132
	s_mov_b32 s0, exec_lo
	s_wait_loadcnt 0x0
	v_and_b32_e32 v46, 0x78000000, v23
	s_wait_xcnt 0x0
	s_delay_alu instid0(VALU_DEP_1)
	v_cmpx_lt_u32_e32 0x10000000, v46
	s_cbranch_execz .LBB1_40
; %bb.35:                               ;   in Loop: Header=BB1_6 Depth=2
	v_cmp_eq_u32_e64 s28, -1, v4
	s_mov_b32 s29, exec_lo
	v_cmpx_ne_u32_e32 -1, v4
	s_cbranch_execz .LBB1_37
; %bb.36:                               ;   in Loop: Header=BB1_6 Depth=2
	v_mad_nc_i64_i32 v[40:41], v4, 28, v[12:13]
	s_and_not1_b32 s28, s28, exec_lo
	global_load_b32 v39, v[40:41], off offset:20
	s_wait_xcnt 0x0
	v_bfe_u32 v40, v23, 16, 11
	s_wait_loadcnt 0x0
	v_bfe_u32 v39, v39, 16, 11
	s_delay_alu instid0(VALU_DEP_1) | instskip(SKIP_1) | instid1(SALU_CYCLE_1)
	v_cmp_lt_u32_e32 vcc_lo, v40, v39
	s_and_b32 s30, vcc_lo, exec_lo
	s_or_b32 s28, s28, s30
.LBB1_37:                               ;   in Loop: Header=BB1_6 Depth=2
	s_or_b32 exec_lo, exec_lo, s29
	s_and_saveexec_b32 s29, s28
; %bb.38:                               ;   in Loop: Header=BB1_6 Depth=2
	v_mov_b32_e32 v4, 4
; %bb.39:                               ;   in Loop: Header=BB1_6 Depth=2
	s_or_b32 exec_lo, exec_lo, s29
.LBB1_40:                               ;   in Loop: Header=BB1_6 Depth=2
	s_delay_alu instid0(SALU_CYCLE_1)
	s_or_b32 exec_lo, exec_lo, s0
	global_load_b32 v39, v[12:13], off offset:160
	s_mov_b32 s0, exec_lo
	s_wait_loadcnt 0x0
	v_and_b32_e32 v47, 0x78000000, v39
	s_wait_xcnt 0x0
	s_delay_alu instid0(VALU_DEP_1)
	v_cmpx_lt_u32_e32 0x10000000, v47
	s_cbranch_execz .LBB1_46
; %bb.41:                               ;   in Loop: Header=BB1_6 Depth=2
	v_cmp_eq_u32_e64 s28, -1, v4
	s_mov_b32 s29, exec_lo
	v_cmpx_ne_u32_e32 -1, v4
	s_cbranch_execz .LBB1_43
; %bb.42:                               ;   in Loop: Header=BB1_6 Depth=2
	v_mad_nc_i64_i32 v[40:41], v4, 28, v[12:13]
	s_and_not1_b32 s28, s28, exec_lo
	global_load_b32 v40, v[40:41], off offset:20
	s_wait_xcnt 0x0
	v_bfe_u32 v41, v39, 16, 11
	s_wait_loadcnt 0x0
	v_bfe_u32 v40, v40, 16, 11
	s_delay_alu instid0(VALU_DEP_1) | instskip(SKIP_1) | instid1(SALU_CYCLE_1)
	v_cmp_lt_u32_e32 vcc_lo, v41, v40
	s_and_b32 s30, vcc_lo, exec_lo
	s_or_b32 s28, s28, s30
.LBB1_43:                               ;   in Loop: Header=BB1_6 Depth=2
	s_or_b32 exec_lo, exec_lo, s29
	s_and_saveexec_b32 s29, s28
; %bb.44:                               ;   in Loop: Header=BB1_6 Depth=2
	v_mov_b32_e32 v4, 5
; %bb.45:                               ;   in Loop: Header=BB1_6 Depth=2
	s_or_b32 exec_lo, exec_lo, s29
.LBB1_46:                               ;   in Loop: Header=BB1_6 Depth=2
	s_delay_alu instid0(SALU_CYCLE_1)
	s_or_b32 exec_lo, exec_lo, s0
	global_load_b32 v40, v[12:13], off offset:188
	s_mov_b32 s0, exec_lo
	s_wait_loadcnt 0x0
	v_and_b32_e32 v48, 0x78000000, v40
	s_wait_xcnt 0x0
	s_delay_alu instid0(VALU_DEP_1)
	v_cmpx_lt_u32_e32 0x10000000, v48
	s_cbranch_execz .LBB1_52
; %bb.47:                               ;   in Loop: Header=BB1_6 Depth=2
	v_cmp_eq_u32_e64 s28, -1, v4
	s_mov_b32 s29, exec_lo
	v_cmpx_ne_u32_e32 -1, v4
	s_cbranch_execz .LBB1_49
; %bb.48:                               ;   in Loop: Header=BB1_6 Depth=2
	v_mad_nc_i64_i32 v[50:51], v4, 28, v[12:13]
	v_bfe_u32 v49, v40, 16, 11
	s_and_not1_b32 s28, s28, exec_lo
	global_load_b32 v41, v[50:51], off offset:20
	s_wait_loadcnt 0x0
	v_bfe_u32 v41, v41, 16, 11
	s_delay_alu instid0(VALU_DEP_1) | instskip(SKIP_1) | instid1(SALU_CYCLE_1)
	v_cmp_lt_u32_e32 vcc_lo, v49, v41
	s_and_b32 s30, vcc_lo, exec_lo
	s_or_b32 s28, s28, s30
.LBB1_49:                               ;   in Loop: Header=BB1_6 Depth=2
	s_wait_xcnt 0x0
	s_or_b32 exec_lo, exec_lo, s29
	s_and_saveexec_b32 s29, s28
; %bb.50:                               ;   in Loop: Header=BB1_6 Depth=2
	v_mov_b32_e32 v4, 6
; %bb.51:                               ;   in Loop: Header=BB1_6 Depth=2
	s_or_b32 exec_lo, exec_lo, s29
.LBB1_52:                               ;   in Loop: Header=BB1_6 Depth=2
	s_delay_alu instid0(SALU_CYCLE_1)
	s_or_b32 exec_lo, exec_lo, s0
	global_load_b32 v41, v[12:13], off offset:216
	s_mov_b32 s0, exec_lo
	s_wait_loadcnt 0x0
	v_and_b32_e32 v49, 0x78000000, v41
	s_wait_xcnt 0x0
	s_delay_alu instid0(VALU_DEP_1)
	v_cmpx_lt_u32_e32 0x10000000, v49
	s_cbranch_execz .LBB1_58
; %bb.53:                               ;   in Loop: Header=BB1_6 Depth=2
	v_cmp_eq_u32_e64 s28, -1, v4
	s_mov_b32 s29, exec_lo
	v_cmpx_ne_u32_e32 -1, v4
	s_cbranch_execz .LBB1_55
; %bb.54:                               ;   in Loop: Header=BB1_6 Depth=2
	v_mad_nc_i64_i32 v[50:51], v4, 28, v[12:13]
	s_and_not1_b32 s28, s28, exec_lo
	global_load_b32 v50, v[50:51], off offset:20
	s_wait_xcnt 0x0
	v_bfe_u32 v51, v41, 16, 11
	s_wait_loadcnt 0x0
	v_bfe_u32 v50, v50, 16, 11
	s_delay_alu instid0(VALU_DEP_1) | instskip(SKIP_1) | instid1(SALU_CYCLE_1)
	v_cmp_lt_u32_e32 vcc_lo, v51, v50
	s_and_b32 s30, vcc_lo, exec_lo
	s_or_b32 s28, s28, s30
.LBB1_55:                               ;   in Loop: Header=BB1_6 Depth=2
	s_or_b32 exec_lo, exec_lo, s29
	s_and_saveexec_b32 s29, s28
; %bb.56:                               ;   in Loop: Header=BB1_6 Depth=2
	v_mov_b32_e32 v4, 7
; %bb.57:                               ;   in Loop: Header=BB1_6 Depth=2
	s_or_b32 exec_lo, exec_lo, s29
.LBB1_58:                               ;   in Loop: Header=BB1_6 Depth=2
	s_delay_alu instid0(SALU_CYCLE_1) | instskip(NEXT) | instid1(SALU_CYCLE_1)
	s_or_b32 exec_lo, exec_lo, s0
	s_mov_b32 s28, exec_lo
	s_delay_alu instid0(VALU_DEP_1)
	v_cmpx_eq_u32_e32 -1, v4
	s_cbranch_execz .LBB1_102
; %bb.59:                               ;   in Loop: Header=BB1_6 Depth=2
	v_cmp_ne_u32_e64 s30, 0x10000000, v43
	s_mov_b32 s29, exec_lo
	v_cmp_eq_u32_e32 vcc_lo, 0x10000000, v43
	v_cndmask_b32_e64 v4, 0, -1, s30
	v_cmpx_eq_u32_e32 0x10000000, v42
	s_cbranch_execz .LBB1_65
; %bb.60:                               ;   in Loop: Header=BB1_6 Depth=2
	s_and_saveexec_b32 s0, vcc_lo
; %bb.61:                               ;   in Loop: Header=BB1_6 Depth=2
	v_bfe_u32 v4, v9, 16, 11
	v_bfe_u32 v42, v8, 16, 11
	s_and_not1_b32 s30, s30, exec_lo
	s_delay_alu instid0(VALU_DEP_1) | instskip(SKIP_1) | instid1(SALU_CYCLE_1)
	v_cmp_lt_u32_e32 vcc_lo, v4, v42
	s_and_b32 s31, vcc_lo, exec_lo
	s_or_b32 s30, s30, s31
; %bb.62:                               ;   in Loop: Header=BB1_6 Depth=2
	s_or_b32 exec_lo, exec_lo, s0
	v_mov_b32_e32 v4, 0
	s_and_saveexec_b32 s0, s30
; %bb.63:                               ;   in Loop: Header=BB1_6 Depth=2
	v_mov_b32_e32 v4, 1
; %bb.64:                               ;   in Loop: Header=BB1_6 Depth=2
	s_or_b32 exec_lo, exec_lo, s0
.LBB1_65:                               ;   in Loop: Header=BB1_6 Depth=2
	s_delay_alu instid0(SALU_CYCLE_1) | instskip(NEXT) | instid1(SALU_CYCLE_1)
	s_or_b32 exec_lo, exec_lo, s29
	s_mov_b32 s0, exec_lo
	v_cmpx_eq_u32_e32 0x10000000, v44
	s_cbranch_execz .LBB1_71
; %bb.66:                               ;   in Loop: Header=BB1_6 Depth=2
	v_cmp_eq_u32_e64 s29, -1, v4
	s_mov_b32 s30, exec_lo
	v_cmpx_ne_u32_e32 -1, v4
	s_cbranch_execz .LBB1_68
; %bb.67:                               ;   in Loop: Header=BB1_6 Depth=2
	v_mad_nc_i64_i32 v[42:43], v4, 28, v[12:13]
	s_and_not1_b32 s29, s29, exec_lo
	global_load_b32 v42, v[42:43], off offset:20
	s_wait_xcnt 0x0
	v_bfe_u32 v43, v11, 16, 11
	s_wait_loadcnt 0x0
	v_bfe_u32 v42, v42, 16, 11
	s_delay_alu instid0(VALU_DEP_1) | instskip(SKIP_1) | instid1(SALU_CYCLE_1)
	v_cmp_lt_u32_e32 vcc_lo, v43, v42
	s_and_b32 s31, vcc_lo, exec_lo
	s_or_b32 s29, s29, s31
.LBB1_68:                               ;   in Loop: Header=BB1_6 Depth=2
	s_or_b32 exec_lo, exec_lo, s30
	s_and_saveexec_b32 s30, s29
; %bb.69:                               ;   in Loop: Header=BB1_6 Depth=2
	v_mov_b32_e32 v4, 2
; %bb.70:                               ;   in Loop: Header=BB1_6 Depth=2
	s_or_b32 exec_lo, exec_lo, s30
.LBB1_71:                               ;   in Loop: Header=BB1_6 Depth=2
	s_delay_alu instid0(SALU_CYCLE_1) | instskip(NEXT) | instid1(SALU_CYCLE_1)
	s_or_b32 exec_lo, exec_lo, s0
	s_mov_b32 s0, exec_lo
	v_cmpx_eq_u32_e32 0x10000000, v45
	s_cbranch_execz .LBB1_77
; %bb.72:                               ;   in Loop: Header=BB1_6 Depth=2
	v_cmp_eq_u32_e64 s29, -1, v4
	s_mov_b32 s30, exec_lo
	v_cmpx_ne_u32_e32 -1, v4
	s_cbranch_execz .LBB1_74
; %bb.73:                               ;   in Loop: Header=BB1_6 Depth=2
	v_mad_nc_i64_i32 v[42:43], v4, 28, v[12:13]
	s_and_not1_b32 s29, s29, exec_lo
	global_load_b32 v42, v[42:43], off offset:20
	s_wait_xcnt 0x0
	v_bfe_u32 v43, v22, 16, 11
	s_wait_loadcnt 0x0
	v_bfe_u32 v42, v42, 16, 11
	s_delay_alu instid0(VALU_DEP_1) | instskip(SKIP_1) | instid1(SALU_CYCLE_1)
	v_cmp_lt_u32_e32 vcc_lo, v43, v42
	s_and_b32 s31, vcc_lo, exec_lo
	s_or_b32 s29, s29, s31
.LBB1_74:                               ;   in Loop: Header=BB1_6 Depth=2
	s_or_b32 exec_lo, exec_lo, s30
	s_and_saveexec_b32 s30, s29
; %bb.75:                               ;   in Loop: Header=BB1_6 Depth=2
	v_mov_b32_e32 v4, 3
; %bb.76:                               ;   in Loop: Header=BB1_6 Depth=2
	s_or_b32 exec_lo, exec_lo, s30
.LBB1_77:                               ;   in Loop: Header=BB1_6 Depth=2
	;; [unrolled: 30-line block ×5, first 2 shown]
	s_delay_alu instid0(SALU_CYCLE_1) | instskip(NEXT) | instid1(SALU_CYCLE_1)
	s_or_b32 exec_lo, exec_lo, s0
	s_mov_b32 s0, exec_lo
	v_cmpx_eq_u32_e32 0x10000000, v49
	s_cbranch_execz .LBB1_101
; %bb.96:                               ;   in Loop: Header=BB1_6 Depth=2
	v_cmp_eq_u32_e64 s29, -1, v4
	s_mov_b32 s30, exec_lo
	v_cmpx_ne_u32_e32 -1, v4
	s_cbranch_execz .LBB1_98
; %bb.97:                               ;   in Loop: Header=BB1_6 Depth=2
	v_mad_nc_i64_i32 v[42:43], v4, 28, v[12:13]
	s_and_not1_b32 s29, s29, exec_lo
	global_load_b32 v42, v[42:43], off offset:20
	s_wait_xcnt 0x0
	v_bfe_u32 v43, v41, 16, 11
	s_wait_loadcnt 0x0
	v_bfe_u32 v42, v42, 16, 11
	s_delay_alu instid0(VALU_DEP_1) | instskip(SKIP_1) | instid1(SALU_CYCLE_1)
	v_cmp_lt_u32_e32 vcc_lo, v43, v42
	s_and_b32 s31, vcc_lo, exec_lo
	s_or_b32 s29, s29, s31
.LBB1_98:                               ;   in Loop: Header=BB1_6 Depth=2
	s_or_b32 exec_lo, exec_lo, s30
	s_and_saveexec_b32 s30, s29
; %bb.99:                               ;   in Loop: Header=BB1_6 Depth=2
	v_mov_b32_e32 v4, 7
; %bb.100:                              ;   in Loop: Header=BB1_6 Depth=2
	s_or_b32 exec_lo, exec_lo, s30
.LBB1_101:                              ;   in Loop: Header=BB1_6 Depth=2
	s_delay_alu instid0(SALU_CYCLE_1)
	s_or_b32 exec_lo, exec_lo, s0
.LBB1_102:                              ;   in Loop: Header=BB1_6 Depth=2
	s_delay_alu instid0(SALU_CYCLE_1) | instskip(NEXT) | instid1(SALU_CYCLE_1)
	s_or_b32 exec_lo, exec_lo, s28
	s_mov_b32 s28, exec_lo
	v_cmpx_eq_u32_e32 -1, v4
	s_cbranch_execz .LBB1_146
; %bb.103:                              ;   in Loop: Header=BB1_6 Depth=2
	v_and_b32_e32 v4, 0x70000000, v8
	v_and_b32_e32 v42, 0x70000000, v9
	s_mov_b32 s29, exec_lo
	s_delay_alu instid0(VALU_DEP_2) | instskip(SKIP_1) | instid1(VALU_DEP_2)
	v_cmp_ne_u32_e64 s30, 0, v4
	v_cmp_eq_u32_e32 vcc_lo, 0, v4
	v_cndmask_b32_e64 v4, 0, -1, s30
	v_cmpx_eq_u32_e32 0, v42
	s_cbranch_execz .LBB1_109
; %bb.104:                              ;   in Loop: Header=BB1_6 Depth=2
	s_and_saveexec_b32 s0, vcc_lo
; %bb.105:                              ;   in Loop: Header=BB1_6 Depth=2
	v_bfe_u32 v4, v9, 16, 11
	v_bfe_u32 v8, v8, 16, 11
	s_and_not1_b32 s30, s30, exec_lo
	s_delay_alu instid0(VALU_DEP_1) | instskip(SKIP_1) | instid1(SALU_CYCLE_1)
	v_cmp_lt_u32_e32 vcc_lo, v4, v8
	s_and_b32 s31, vcc_lo, exec_lo
	s_or_b32 s30, s30, s31
; %bb.106:                              ;   in Loop: Header=BB1_6 Depth=2
	s_or_b32 exec_lo, exec_lo, s0
	v_mov_b32_e32 v4, 0
	s_and_saveexec_b32 s0, s30
; %bb.107:                              ;   in Loop: Header=BB1_6 Depth=2
	v_mov_b32_e32 v4, 1
; %bb.108:                              ;   in Loop: Header=BB1_6 Depth=2
	s_or_b32 exec_lo, exec_lo, s0
.LBB1_109:                              ;   in Loop: Header=BB1_6 Depth=2
	s_delay_alu instid0(SALU_CYCLE_1) | instskip(SKIP_2) | instid1(VALU_DEP_1)
	s_or_b32 exec_lo, exec_lo, s29
	v_and_b32_e32 v8, 0x70000000, v11
	s_mov_b32 s0, exec_lo
	v_cmpx_eq_u32_e32 0, v8
	s_cbranch_execz .LBB1_115
; %bb.110:                              ;   in Loop: Header=BB1_6 Depth=2
	v_cmp_eq_u32_e64 s29, -1, v4
	s_mov_b32 s30, exec_lo
	v_cmpx_ne_u32_e32 -1, v4
	s_cbranch_execz .LBB1_112
; %bb.111:                              ;   in Loop: Header=BB1_6 Depth=2
	v_mad_nc_i64_i32 v[8:9], v4, 28, v[12:13]
	s_and_not1_b32 s29, s29, exec_lo
	global_load_b32 v8, v[8:9], off offset:20
	s_wait_xcnt 0x0
	v_bfe_u32 v9, v11, 16, 11
	s_wait_loadcnt 0x0
	v_bfe_u32 v8, v8, 16, 11
	s_delay_alu instid0(VALU_DEP_1) | instskip(SKIP_1) | instid1(SALU_CYCLE_1)
	v_cmp_lt_u32_e32 vcc_lo, v9, v8
	s_and_b32 s31, vcc_lo, exec_lo
	s_or_b32 s29, s29, s31
.LBB1_112:                              ;   in Loop: Header=BB1_6 Depth=2
	s_or_b32 exec_lo, exec_lo, s30
	s_and_saveexec_b32 s30, s29
; %bb.113:                              ;   in Loop: Header=BB1_6 Depth=2
	v_mov_b32_e32 v4, 2
; %bb.114:                              ;   in Loop: Header=BB1_6 Depth=2
	s_or_b32 exec_lo, exec_lo, s30
.LBB1_115:                              ;   in Loop: Header=BB1_6 Depth=2
	s_delay_alu instid0(SALU_CYCLE_1) | instskip(SKIP_2) | instid1(VALU_DEP_1)
	s_or_b32 exec_lo, exec_lo, s0
	v_and_b32_e32 v8, 0x70000000, v22
	s_mov_b32 s0, exec_lo
	v_cmpx_eq_u32_e32 0, v8
	s_cbranch_execz .LBB1_121
; %bb.116:                              ;   in Loop: Header=BB1_6 Depth=2
	v_cmp_eq_u32_e64 s29, -1, v4
	s_mov_b32 s30, exec_lo
	v_cmpx_ne_u32_e32 -1, v4
	s_cbranch_execz .LBB1_118
; %bb.117:                              ;   in Loop: Header=BB1_6 Depth=2
	v_mad_nc_i64_i32 v[8:9], v4, 28, v[12:13]
	s_and_not1_b32 s29, s29, exec_lo
	global_load_b32 v8, v[8:9], off offset:20
	s_wait_xcnt 0x0
	v_bfe_u32 v9, v22, 16, 11
	s_wait_loadcnt 0x0
	v_bfe_u32 v8, v8, 16, 11
	s_delay_alu instid0(VALU_DEP_1) | instskip(SKIP_1) | instid1(SALU_CYCLE_1)
	v_cmp_lt_u32_e32 vcc_lo, v9, v8
	s_and_b32 s31, vcc_lo, exec_lo
	s_or_b32 s29, s29, s31
.LBB1_118:                              ;   in Loop: Header=BB1_6 Depth=2
	s_or_b32 exec_lo, exec_lo, s30
	s_and_saveexec_b32 s30, s29
; %bb.119:                              ;   in Loop: Header=BB1_6 Depth=2
	v_mov_b32_e32 v4, 3
; %bb.120:                              ;   in Loop: Header=BB1_6 Depth=2
	s_or_b32 exec_lo, exec_lo, s30
.LBB1_121:                              ;   in Loop: Header=BB1_6 Depth=2
	;; [unrolled: 31-line block ×6, first 2 shown]
	s_delay_alu instid0(SALU_CYCLE_1)
	s_or_b32 exec_lo, exec_lo, s0
.LBB1_146:                              ;   in Loop: Header=BB1_6 Depth=2
	s_delay_alu instid0(SALU_CYCLE_1) | instskip(NEXT) | instid1(VALU_DEP_1)
	s_or_b32 exec_lo, exec_lo, s28
	v_mad_nc_i64_i32 v[8:9], v4, 28, v[12:13]
	global_store_b8 v[8:9], v38, off offset:24
.LBB1_147:                              ;   in Loop: Header=BB1_6 Depth=2
	s_wait_xcnt 0x0
	s_or_b32 exec_lo, exec_lo, s27
.LBB1_148:                              ;   in Loop: Header=BB1_6 Depth=2
	s_delay_alu instid0(SALU_CYCLE_1)
	s_or_b32 exec_lo, exec_lo, s26
.LBB1_149:                              ;   in Loop: Header=BB1_6 Depth=2
	s_delay_alu instid0(SALU_CYCLE_1)
	s_or_b32 exec_lo, exec_lo, s25
.LBB1_150:                              ;   in Loop: Header=BB1_6 Depth=2
	s_delay_alu instid0(SALU_CYCLE_1)
	s_or_b32 exec_lo, exec_lo, s24
.LBB1_151:                              ;   in Loop: Header=BB1_6 Depth=2
	s_delay_alu instid0(SALU_CYCLE_1)
	s_or_b32 exec_lo, exec_lo, s23
.LBB1_152:                              ;   in Loop: Header=BB1_6 Depth=2
	s_delay_alu instid0(SALU_CYCLE_1)
	s_or_b32 exec_lo, exec_lo, s3
.LBB1_153:                              ;   in Loop: Header=BB1_6 Depth=2
	s_delay_alu instid0(SALU_CYCLE_1)
	s_or_b32 exec_lo, exec_lo, s2
.LBB1_154:                              ;   in Loop: Header=BB1_6 Depth=2
	s_delay_alu instid0(SALU_CYCLE_1)
	s_or_b32 exec_lo, exec_lo, s1
	v_mad_nc_i64_i32 v[22:23], v4, 28, v[12:13]
	v_bfe_u32 v40, v27, 27, 4
	v_bfe_u32 v39, v25, 27, 4
	s_mov_b32 s3, 0
                                        ; implicit-def: $vgpr41
	s_mov_b32 s0, exec_lo
	s_delay_alu instid0(VALU_DEP_1)
	v_cmpx_ge_u32_e64 v40, v39
	s_xor_b32 s1, exec_lo, s0
	s_cbranch_execz .LBB1_164
; %bb.155:                              ;   in Loop: Header=BB1_6 Depth=2
	ds_load_u16 v8, v29
	ds_load_u8 v9, v29 offset:2
	s_mov_b32 s2, 0
	s_mov_b32 s0, 0
	s_mov_b32 s3, exec_lo
	ds_store_b32 v33, v5 offset:4
	ds_store_2addr_b32 v33, v6, v7 offset0:2 offset1:3
	ds_store_2addr_b32 v33, v26, v27 offset0:4 offset1:5
	s_wait_loadcnt 0x0
	ds_store_b8 v33, v0 offset:24
                                        ; implicit-def: $vgpr11
	s_wait_dscnt 0x5
	ds_store_b16 v35, v8
	s_wait_dscnt 0x5
	ds_store_b8 v35, v9 offset:2
	ds_store_2addr_b32 v34, v1, v2 offset0:1 offset1:2
	ds_store_2addr_b32 v34, v3, v24 offset0:3 offset1:4
	ds_store_b32 v34, v25 offset:20
	ds_store_b8 v34, v28 offset:24
                                        ; implicit-def: $vgpr8
                                        ; implicit-def: $vgpr9
	v_cmpx_ne_u32_e32 0, v39
	s_xor_b32 s3, exec_lo, s3
	s_cbranch_execz .LBB1_224
; %bb.156:                              ;   in Loop: Header=BB1_6 Depth=2
	v_dual_mov_b32 v9, 1 :: v_dual_mov_b32 v8, 0
	v_mov_b32_e32 v11, v5
	s_mov_b32 s0, exec_lo
	v_cmpx_ge_i32_e64 v5, v1
; %bb.157:                              ;   in Loop: Header=BB1_6 Depth=2
	v_cmp_le_i32_e32 vcc_lo, v5, v1
	v_dual_mov_b32 v8, 1 :: v_dual_mov_b32 v11, v1
	v_cndmask_b32_e64 v9, 0, 1, vcc_lo
; %bb.158:                              ;   in Loop: Header=BB1_6 Depth=2
	s_or_b32 exec_lo, exec_lo, s0
	s_delay_alu instid0(SALU_CYCLE_1)
	s_mov_b32 s0, exec_lo
	s_and_not1_saveexec_b32 s3, s3
	s_cbranch_execnz .LBB1_225
.LBB1_159:                              ;   in Loop: Header=BB1_6 Depth=2
	s_or_b32 exec_lo, exec_lo, s3
	v_mov_b32_e32 v42, 0
	s_and_saveexec_b32 s3, s0
	s_cbranch_execnz .LBB1_226
.LBB1_160:                              ;   in Loop: Header=BB1_6 Depth=2
	s_or_b32 exec_lo, exec_lo, s3
	s_mov_b32 s0, 0
                                        ; implicit-def: $vgpr41
	s_and_saveexec_b32 s3, s2
	s_cbranch_execz .LBB1_162
.LBB1_161:                              ;   in Loop: Header=BB1_6 Depth=2
	global_load_b32 v8, v[22:23], off offset:20
	s_mov_b32 s0, exec_lo
	s_wait_loadcnt 0x0
	v_and_or_b32 v41, 0x87ffffff, v8, v42
	global_store_b32 v[22:23], v41, off offset:20
.LBB1_162:                              ;   in Loop: Header=BB1_6 Depth=2
	s_wait_xcnt 0x0
	s_or_b32 exec_lo, exec_lo, s3
	s_delay_alu instid0(SALU_CYCLE_1)
	s_and_b32 s3, s0, exec_lo
	s_and_not1_saveexec_b32 s23, s1
	s_cbranch_execnz .LBB1_165
.LBB1_163:                              ;   in Loop: Header=BB1_6 Depth=2
	s_or_b32 exec_lo, exec_lo, s23
	v_mov_b32_e32 v8, 7
	s_and_saveexec_b32 s23, s3
	s_cbranch_execnz .LBB1_183
	s_branch .LBB1_495
.LBB1_164:                              ;   in Loop: Header=BB1_6 Depth=2
	s_and_not1_saveexec_b32 s23, s1
	s_cbranch_execz .LBB1_163
.LBB1_165:                              ;   in Loop: Header=BB1_6 Depth=2
	v_cmp_eq_u32_e32 vcc_lo, 0, v40
	v_cmp_lt_i32_e64 s0, v1, v5
	v_cmp_le_i32_e64 s2, v1, v5
	v_dual_mov_b32 v42, v1 :: v_dual_mov_b32 v43, v2
	v_dual_mov_b32 v44, v3 :: v_dual_mov_b32 v45, v24
	s_or_b32 s1, vcc_lo, s0
	s_mov_b32 s24, 0
	s_or_b32 vcc_lo, s1, s2
	s_xor_b32 s0, s1, -1
	v_cndmask_b32_e64 v9, 0, 1, vcc_lo
	v_cndmask_b32_e64 v11, v5, v1, s1
	v_cndmask_b32_e64 v8, 0, 1, s0
	s_mov_b32 s26, 0
	s_mov_b32 s25, exec_lo
	v_cmp_ne_u32_e64 s0, v39, v9
	s_clause 0x2
	scratch_store_b128 off, v[42:45], off offset:228
	scratch_store_b32 off, v25, off offset:244
	scratch_store_b8 off, v28, off offset:248
	ds_store_b32 v32, v5 offset:4
	ds_store_2addr_b32 v32, v6, v7 offset0:2 offset1:3
	ds_store_2addr_b32 v32, v26, v27 offset0:4 offset1:5
	s_wait_loadcnt 0x0
	ds_store_b8 v32, v0 offset:24
	global_store_b32 v[22:23], v11, off offset:4
	s_wait_xcnt 0x0
	v_cmpx_ne_u32_e64 v40, v8
	s_xor_b32 s25, exec_lo, s25
	s_cbranch_execz .LBB1_241
; %bb.166:                              ;   in Loop: Header=BB1_6 Depth=2
	v_cndmask_b32_e64 v11, v6, v5, s1
	s_and_saveexec_b32 s2, s0
	s_delay_alu instid0(SALU_CYCLE_1)
	s_xor_b32 s26, exec_lo, s2
	s_cbranch_execz .LBB1_176
; %bb.167:                              ;   in Loop: Header=BB1_6 Depth=2
	v_cndmask_b32_e32 v41, v1, v2, vcc_lo
	s_mov_b32 s27, exec_lo
	s_delay_alu instid0(VALU_DEP_1)
	v_cmpx_ge_i32_e64 v41, v11
	s_xor_b32 s27, exec_lo, s27
	s_cbranch_execz .LBB1_173
; %bb.168:                              ;   in Loop: Header=BB1_6 Depth=2
	v_cmp_le_i32_e64 s2, v41, v11
                                        ; implicit-def: $vgpr8
	s_and_saveexec_b32 s28, s2
	s_delay_alu instid0(SALU_CYCLE_1)
	s_xor_b32 s2, exec_lo, s28
	s_cbranch_execz .LBB1_170
; %bb.169:                              ;   in Loop: Header=BB1_6 Depth=2
	v_cndmask_b32_e64 v9, 1, 2, vcc_lo
	v_cndmask_b32_e64 v8, 2, 1, s1
	global_store_b32 v[22:23], v41, off offset:8
                                        ; implicit-def: $vgpr11
.LBB1_170:                              ;   in Loop: Header=BB1_6 Depth=2
	s_wait_xcnt 0x0
	s_and_not1_saveexec_b32 s2, s2
	s_cbranch_execz .LBB1_172
; %bb.171:                              ;   in Loop: Header=BB1_6 Depth=2
	v_cndmask_b32_e64 v8, 2, 1, s1
	global_store_b32 v[22:23], v11, off offset:8
.LBB1_172:                              ;   in Loop: Header=BB1_6 Depth=2
	s_wait_xcnt 0x0
	s_or_b32 exec_lo, exec_lo, s2
                                        ; implicit-def: $vgpr41
.LBB1_173:                              ;   in Loop: Header=BB1_6 Depth=2
	s_and_not1_saveexec_b32 s2, s27
	s_cbranch_execz .LBB1_175
; %bb.174:                              ;   in Loop: Header=BB1_6 Depth=2
	v_cndmask_b32_e64 v9, 1, 2, vcc_lo
	global_store_b32 v[22:23], v41, off offset:8
.LBB1_175:                              ;   in Loop: Header=BB1_6 Depth=2
	s_wait_xcnt 0x0
	s_or_b32 exec_lo, exec_lo, s2
                                        ; implicit-def: $vgpr11
.LBB1_176:                              ;   in Loop: Header=BB1_6 Depth=2
	s_and_not1_saveexec_b32 s2, s26
	s_cbranch_execz .LBB1_178
; %bb.177:                              ;   in Loop: Header=BB1_6 Depth=2
	v_mov_b32_e32 v9, 1
	v_cndmask_b32_e64 v8, 2, 1, s1
	global_store_b32 v[22:23], v11, off offset:8
.LBB1_178:                              ;   in Loop: Header=BB1_6 Depth=2
	s_wait_xcnt 0x0
	s_or_b32 exec_lo, exec_lo, s2
	s_delay_alu instid0(SALU_CYCLE_1)
	s_mov_b32 s26, exec_lo
	s_and_not1_saveexec_b32 s1, s25
	s_cbranch_execnz .LBB1_242
.LBB1_179:                              ;   in Loop: Header=BB1_6 Depth=2
	s_or_b32 exec_lo, exec_lo, s1
	v_bfrev_b32_e32 v42, 16
	s_and_saveexec_b32 s1, s26
	s_cbranch_execnz .LBB1_245
.LBB1_180:                              ;   in Loop: Header=BB1_6 Depth=2
	s_or_b32 exec_lo, exec_lo, s1
	s_mov_b32 s0, s3
                                        ; implicit-def: $vgpr41
	s_and_saveexec_b32 s1, s24
	s_cbranch_execz .LBB1_182
.LBB1_181:                              ;   in Loop: Header=BB1_6 Depth=2
	global_load_b32 v8, v[22:23], off offset:20
	s_or_b32 s0, s3, exec_lo
	s_wait_loadcnt 0x0
	v_and_or_b32 v41, 0x87ffffff, v8, v42
	global_store_b32 v[22:23], v41, off offset:20
.LBB1_182:                              ;   in Loop: Header=BB1_6 Depth=2
	s_wait_xcnt 0x0
	s_or_b32 exec_lo, exec_lo, s1
	s_delay_alu instid0(SALU_CYCLE_1) | instskip(SKIP_1) | instid1(SALU_CYCLE_1)
	s_and_not1_b32 s1, s3, exec_lo
	s_and_b32 s0, s0, exec_lo
	s_or_b32 s3, s1, s0
	s_or_b32 exec_lo, exec_lo, s23
	v_mov_b32_e32 v8, 7
	s_and_saveexec_b32 s23, s3
	s_cbranch_execz .LBB1_495
.LBB1_183:                              ;   in Loop: Header=BB1_6 Depth=2
	v_bfe_u32 v42, v41, 27, 4
	s_mov_b32 s3, 0
	s_mov_b32 s24, 0
	s_clause 0x1
	global_store_b32 v[22:23], v10, off
	global_store_b8 v[22:23], v28, off offset:24
                                        ; implicit-def: $sgpr25
                                        ; implicit-def: $sgpr26
	v_cmp_ne_u32_e32 vcc_lo, 0, v42
	s_branch .LBB1_185
.LBB1_184:                              ;   in Loop: Header=BB1_185 Depth=3
	s_or_b32 exec_lo, exec_lo, s2
	s_delay_alu instid0(SALU_CYCLE_1) | instskip(NEXT) | instid1(SALU_CYCLE_1)
	s_and_b32 s0, exec_lo, s1
	s_or_b32 s3, s0, s3
	s_and_not1_b32 s0, s25, exec_lo
	s_and_b32 s1, s26, exec_lo
	s_delay_alu instid0(SALU_CYCLE_1)
	s_or_b32 s25, s0, s1
	s_and_not1_b32 exec_lo, exec_lo, s3
	s_cbranch_execz .LBB1_260
.LBB1_185:                              ;   Parent Loop BB1_3 Depth=1
                                        ;     Parent Loop BB1_6 Depth=2
                                        ; =>    This Loop Header: Depth=3
                                        ;         Child Loop BB1_193 Depth 4
                                        ;           Child Loop BB1_194 Depth 5
                                        ;         Child Loop BB1_209 Depth 4
                                        ;           Child Loop BB1_210 Depth 5
	v_cmp_eq_u32_e64 s0, s24, v4
	s_mov_b32 s27, exec_lo
	s_wait_xcnt 0x0
	v_cmpx_ne_u32_e64 s24, v4
	s_cbranch_execz .LBB1_222
; %bb.186:                              ;   in Loop: Header=BB1_185 Depth=3
	v_mad_nc_u64_u32 v[8:9], s24, 28, v[12:13]
	s_mov_b32 s2, -1
	s_mov_b32 s28, exec_lo
	global_load_u8 v11, v[8:9], off offset:24
	s_wait_loadcnt 0x0
	v_and_b32_e32 v11, 1, v11
	s_wait_xcnt 0x0
	s_delay_alu instid0(VALU_DEP_1)
	v_cmpx_eq_u32_e32 1, v11
	s_cbranch_execz .LBB1_221
; %bb.187:                              ;   in Loop: Header=BB1_185 Depth=3
	s_clause 0x1
	global_load_b32 v43, v[8:9], off offset:20
	global_load_b32 v45, v[8:9], off
	s_mov_b32 s29, 0
	s_mov_b32 s2, exec_lo
	s_wait_loadcnt 0x1
	v_bfe_u32 v11, v43, 27, 4
	s_wait_loadcnt 0x0
	v_and_b32_e32 v44, v10, v45
	s_wait_xcnt 0x0
	s_delay_alu instid0(VALU_DEP_2)
	v_cmpx_le_u32_e64 v11, v42
	s_xor_b32 s30, exec_lo, s2
	s_cbranch_execz .LBB1_203
; %bb.188:                              ;   in Loop: Header=BB1_185 Depth=3
	s_mov_b32 s2, -1
	s_mov_b32 s29, exec_lo
	v_cmpx_eq_u32_e64 v44, v45
	s_cbranch_execz .LBB1_202
; %bb.189:                              ;   in Loop: Header=BB1_185 Depth=3
	s_clause 0x2
	global_load_b128 v[44:47], v[22:23], off
	global_load_b128 v[48:51], v[22:23], off offset:12
	global_load_b128 v[52:55], v[8:9], off offset:4
	s_mov_b32 s2, 0
	s_mov_b32 s31, exec_lo
	s_wait_loadcnt 0x2
	scratch_store_b128 off, v[44:47], off offset:168
	s_wait_loadcnt 0x1
	scratch_store_b128 off, v[48:51], off offset:180
	s_wait_loadcnt 0x0
	s_clause 0x2
	scratch_store_b128 off, v[52:55], off offset:144
	scratch_store_b32 off, v43, off offset:160
	scratch_store_b8 off, v28, off offset:164
	s_wait_xcnt 0x0
	v_cmpx_ne_u32_e32 0, v11
	s_cbranch_execz .LBB1_201
; %bb.190:                              ;   in Loop: Header=BB1_185 Depth=3
	scratch_load_b32 v8, off, off offset:188
	s_mov_b32 s2, -1
	s_mov_b32 s33, exec_lo
	s_wait_loadcnt 0x0
	v_bfe_u32 v8, v8, 27, 4
	s_wait_xcnt 0x0
	s_delay_alu instid0(VALU_DEP_1)
	v_cmpx_ne_u32_e32 0, v8
	s_cbranch_execz .LBB1_198
; %bb.191:                              ;   in Loop: Header=BB1_185 Depth=3
	s_mov_b32 s34, 0
	s_mov_b32 s35, 0
                                        ; implicit-def: $sgpr36
                                        ; implicit-def: $sgpr37
	s_branch .LBB1_193
.LBB1_192:                              ;   in Loop: Header=BB1_193 Depth=4
	s_or_b32 exec_lo, exec_lo, s38
	s_delay_alu instid0(SALU_CYCLE_1) | instskip(NEXT) | instid1(SALU_CYCLE_1)
	s_and_b32 s1, exec_lo, s2
	s_or_b32 s34, s1, s34
	s_and_not1_b32 s1, s36, exec_lo
	s_and_b32 s2, s37, exec_lo
	s_delay_alu instid0(SALU_CYCLE_1)
	s_or_b32 s36, s1, s2
	s_and_not1_b32 exec_lo, exec_lo, s34
	s_cbranch_execz .LBB1_197
.LBB1_193:                              ;   Parent Loop BB1_3 Depth=1
                                        ;     Parent Loop BB1_6 Depth=2
                                        ;       Parent Loop BB1_185 Depth=3
                                        ; =>      This Loop Header: Depth=4
                                        ;           Child Loop BB1_194 Depth 5
	s_lshl_b32 s1, s35, 2
	v_dual_mov_b32 v9, 0 :: v_dual_mov_b32 v44, v8
	s_addk_co_i32 s1, 0x8c
	s_mov_b32 s38, 0
	scratch_load_b32 v43, off, s1 offset:4
	s_mov_b32 s39, s6
.LBB1_194:                              ;   Parent Loop BB1_3 Depth=1
                                        ;     Parent Loop BB1_6 Depth=2
                                        ;       Parent Loop BB1_185 Depth=3
                                        ;         Parent Loop BB1_193 Depth=4
                                        ; =>        This Inner Loop Header: Depth=5
	scratch_load_b32 v45, off, s39
	s_wait_xcnt 0x0
	s_add_co_i32 s39, s39, 4
	s_wait_loadcnt 0x0
	v_cmp_ne_u32_e64 s2, v45, v43
	s_delay_alu instid0(VALU_DEP_1) | instskip(NEXT) | instid1(VALU_DEP_1)
	v_dual_add_nc_u32 v44, -1, v44 :: v_dual_cndmask_b32 v9, 1, v9, s2
	v_cmp_eq_u32_e64 s1, 0, v44
	s_or_b32 s38, s1, s38
	s_delay_alu instid0(SALU_CYCLE_1)
	s_and_not1_b32 exec_lo, exec_lo, s38
	s_cbranch_execnz .LBB1_194
; %bb.195:                              ;   in Loop: Header=BB1_193 Depth=4
	s_or_b32 exec_lo, exec_lo, s38
	s_mov_b32 s2, -1
	s_or_b32 s37, s37, exec_lo
	s_mov_b32 s38, exec_lo
	v_cmpx_ne_u32_e32 0, v9
	s_cbranch_execz .LBB1_192
; %bb.196:                              ;   in Loop: Header=BB1_193 Depth=4
	s_add_co_i32 s35, s35, 1
	s_and_not1_b32 s37, s37, exec_lo
	v_cmp_eq_u32_e64 s1, s35, v11
	s_or_not1_b32 s2, s1, exec_lo
	s_branch .LBB1_192
.LBB1_197:                              ;   in Loop: Header=BB1_185 Depth=3
	s_or_b32 exec_lo, exec_lo, s34
	s_delay_alu instid0(SALU_CYCLE_1)
	s_or_not1_b32 s2, s36, exec_lo
.LBB1_198:                              ;   in Loop: Header=BB1_185 Depth=3
	s_or_b32 exec_lo, exec_lo, s33
	s_mov_b32 s1, 0
	s_and_saveexec_b32 s33, s2
	s_delay_alu instid0(SALU_CYCLE_1)
	s_xor_b32 s2, exec_lo, s33
; %bb.199:                              ;   in Loop: Header=BB1_185 Depth=3
	s_mov_b32 s1, exec_lo
; %bb.200:                              ;   in Loop: Header=BB1_185 Depth=3
	s_or_b32 exec_lo, exec_lo, s2
	s_delay_alu instid0(SALU_CYCLE_1)
	s_and_b32 s2, s1, exec_lo
.LBB1_201:                              ;   in Loop: Header=BB1_185 Depth=3
	s_or_b32 exec_lo, exec_lo, s31
	s_delay_alu instid0(SALU_CYCLE_1)
	s_or_not1_b32 s2, s2, exec_lo
.LBB1_202:                              ;   in Loop: Header=BB1_185 Depth=3
	s_or_b32 exec_lo, exec_lo, s29
	s_delay_alu instid0(SALU_CYCLE_1)
	s_and_b32 s29, s2, exec_lo
                                        ; implicit-def: $vgpr44
                                        ; implicit-def: $vgpr8_vgpr9
.LBB1_203:                              ;   in Loop: Header=BB1_185 Depth=3
	s_and_not1_saveexec_b32 s30, s30
	s_cbranch_execz .LBB1_220
; %bb.204:                              ;   in Loop: Header=BB1_185 Depth=3
	s_mov_b32 s31, exec_lo
	v_cmpx_eq_u32_e64 v44, v10
	s_cbranch_execz .LBB1_219
; %bb.205:                              ;   in Loop: Header=BB1_185 Depth=3
	s_clause 0x3
	global_load_b128 v[44:47], v[8:9], off
	global_load_b128 v[48:51], v[8:9], off offset:12
	global_load_b128 v[52:55], v[22:23], off offset:4
	global_load_u8 v11, v[22:23], off offset:24
	s_mov_b32 s1, -1
	s_wait_loadcnt 0x3
	scratch_store_b128 off, v[44:47], off offset:196
	s_wait_loadcnt 0x2
	scratch_store_b128 off, v[48:51], off offset:208
	s_wait_loadcnt 0x1
	ds_store_2addr_b32 v31, v52, v53 offset0:1 offset1:2
	ds_store_2addr_b32 v31, v54, v55 offset0:3 offset1:4
	ds_store_b32 v31, v41 offset:20
	s_wait_loadcnt 0x0
	ds_store_b8 v31, v11 offset:24
	s_wait_xcnt 0x0
	s_and_saveexec_b32 s33, vcc_lo
	s_cbranch_execz .LBB1_217
; %bb.206:                              ;   in Loop: Header=BB1_185 Depth=3
	scratch_load_b32 v11, off, off offset:216
	s_mov_b32 s35, -1
	s_mov_b32 s2, 0
	s_mov_b32 s34, exec_lo
	s_wait_loadcnt 0x0
	v_bfe_u32 v11, v11, 27, 4
	s_wait_xcnt 0x0
	s_delay_alu instid0(VALU_DEP_1)
	v_cmpx_ne_u32_e32 0, v11
	s_cbranch_execz .LBB1_214
; %bb.207:                              ;   in Loop: Header=BB1_185 Depth=3
	s_mov_b32 s35, 0
	s_mov_b32 s37, 0
                                        ; implicit-def: $sgpr36
                                        ; implicit-def: $sgpr38
	s_branch .LBB1_209
.LBB1_208:                              ;   in Loop: Header=BB1_209 Depth=4
	s_or_b32 exec_lo, exec_lo, s39
	s_delay_alu instid0(SALU_CYCLE_1) | instskip(NEXT) | instid1(SALU_CYCLE_1)
	s_and_b32 s1, exec_lo, s2
	s_or_b32 s35, s1, s35
	s_and_not1_b32 s1, s36, exec_lo
	s_and_b32 s2, s38, exec_lo
	s_delay_alu instid0(SALU_CYCLE_1)
	s_or_b32 s36, s1, s2
	s_and_not1_b32 exec_lo, exec_lo, s35
	s_cbranch_execz .LBB1_213
.LBB1_209:                              ;   Parent Loop BB1_3 Depth=1
                                        ;     Parent Loop BB1_6 Depth=2
                                        ;       Parent Loop BB1_185 Depth=3
                                        ; =>      This Loop Header: Depth=4
                                        ;           Child Loop BB1_210 Depth 5
	v_lshl_add_u32 v43, s37, 2, v31
	s_mov_b32 s39, 0
	s_mov_b32 s40, s7
	v_mov_b32_e32 v45, v11
	ds_load_b32 v44, v43 offset:4
	v_mov_b32_e32 v43, 0
.LBB1_210:                              ;   Parent Loop BB1_3 Depth=1
                                        ;     Parent Loop BB1_6 Depth=2
                                        ;       Parent Loop BB1_185 Depth=3
                                        ;         Parent Loop BB1_209 Depth=4
                                        ; =>        This Inner Loop Header: Depth=5
	scratch_load_b32 v46, off, s40
	s_wait_xcnt 0x0
	s_add_co_i32 s40, s40, 4
	s_wait_loadcnt_dscnt 0x0
	v_cmp_ne_u32_e64 s2, v46, v44
	s_delay_alu instid0(VALU_DEP_1) | instskip(NEXT) | instid1(VALU_DEP_1)
	v_dual_add_nc_u32 v45, -1, v45 :: v_dual_cndmask_b32 v43, 1, v43, s2
	v_cmp_eq_u32_e64 s1, 0, v45
	s_or_b32 s39, s1, s39
	s_delay_alu instid0(SALU_CYCLE_1)
	s_and_not1_b32 exec_lo, exec_lo, s39
	s_cbranch_execnz .LBB1_210
; %bb.211:                              ;   in Loop: Header=BB1_209 Depth=4
	s_or_b32 exec_lo, exec_lo, s39
	s_mov_b32 s2, -1
	s_or_b32 s38, s38, exec_lo
	s_mov_b32 s39, exec_lo
	v_cmpx_ne_u32_e32 0, v43
	s_cbranch_execz .LBB1_208
; %bb.212:                              ;   in Loop: Header=BB1_209 Depth=4
	s_add_co_i32 s37, s37, 1
	s_and_not1_b32 s38, s38, exec_lo
	v_cmp_eq_u32_e64 s1, s37, v42
	s_or_not1_b32 s2, s1, exec_lo
	s_branch .LBB1_208
.LBB1_213:                              ;   in Loop: Header=BB1_185 Depth=3
	s_or_b32 exec_lo, exec_lo, s35
	s_delay_alu instid0(SALU_CYCLE_1)
	s_mov_b32 s2, exec_lo
	s_or_not1_b32 s35, s36, exec_lo
.LBB1_214:                              ;   in Loop: Header=BB1_185 Depth=3
	s_or_b32 exec_lo, exec_lo, s34
	s_and_saveexec_b32 s1, s35
; %bb.215:                              ;   in Loop: Header=BB1_185 Depth=3
	s_and_not1_b32 s2, s2, exec_lo
; %bb.216:                              ;   in Loop: Header=BB1_185 Depth=3
	s_or_b32 exec_lo, exec_lo, s1
	s_delay_alu instid0(SALU_CYCLE_1)
	s_or_not1_b32 s1, s2, exec_lo
.LBB1_217:                              ;   in Loop: Header=BB1_185 Depth=3
	s_or_b32 exec_lo, exec_lo, s33
	s_delay_alu instid0(SALU_CYCLE_1)
	s_and_b32 exec_lo, exec_lo, s1
	s_cbranch_execz .LBB1_219
; %bb.218:                              ;   in Loop: Header=BB1_185 Depth=3
	global_store_b8 v[8:9], v38, off offset:24
.LBB1_219:                              ;   in Loop: Header=BB1_185 Depth=3
	s_wait_xcnt 0x0
	s_or_b32 exec_lo, exec_lo, s31
	s_delay_alu instid0(SALU_CYCLE_1)
	s_or_b32 s29, s29, exec_lo
.LBB1_220:                              ;   in Loop: Header=BB1_185 Depth=3
	s_or_b32 exec_lo, exec_lo, s30
	s_delay_alu instid0(SALU_CYCLE_1)
	s_or_not1_b32 s2, s29, exec_lo
.LBB1_221:                              ;   in Loop: Header=BB1_185 Depth=3
	s_or_b32 exec_lo, exec_lo, s28
	s_delay_alu instid0(SALU_CYCLE_1) | instskip(SKIP_1) | instid1(SALU_CYCLE_1)
	s_and_not1_b32 s0, s0, exec_lo
	s_and_b32 s1, s2, exec_lo
	s_or_b32 s0, s0, s1
.LBB1_222:                              ;   in Loop: Header=BB1_185 Depth=3
	s_or_b32 exec_lo, exec_lo, s27
	s_mov_b32 s1, -1
	s_or_b32 s26, s26, exec_lo
	s_and_saveexec_b32 s2, s0
	s_cbranch_execz .LBB1_184
; %bb.223:                              ;   in Loop: Header=BB1_185 Depth=3
	s_add_co_i32 s24, s24, 1
	s_delay_alu instid0(SALU_CYCLE_1)
	s_cmp_eq_u32 s24, 8
	s_cselect_b32 s0, -1, 0
	s_and_not1_b32 s26, s26, exec_lo
	s_or_not1_b32 s1, s0, exec_lo
	s_branch .LBB1_184
.LBB1_224:                              ;   in Loop: Header=BB1_6 Depth=2
	s_and_not1_saveexec_b32 s3, s3
	s_cbranch_execz .LBB1_159
.LBB1_225:                              ;   in Loop: Header=BB1_6 Depth=2
	v_cmp_ne_u32_e32 vcc_lo, 0, v40
	v_dual_mov_b32 v8, 0 :: v_dual_mov_b32 v9, 1
	v_mov_b32_e32 v11, v5
	s_and_not1_b32 s0, s0, exec_lo
	s_and_b32 s23, vcc_lo, exec_lo
	s_mov_b32 s2, exec_lo
	s_or_b32 s0, s0, s23
	s_or_b32 exec_lo, exec_lo, s3
	v_mov_b32_e32 v42, 0
	s_and_saveexec_b32 s3, s0
	s_cbranch_execz .LBB1_160
.LBB1_226:                              ;   in Loop: Header=BB1_6 Depth=2
	s_mov_b32 s23, 0
	s_mov_b32 s25, 0
	s_mov_b32 s24, exec_lo
	v_cmp_ne_u32_e32 vcc_lo, v9, v40
	global_store_b32 v[22:23], v11, off offset:4
                                        ; implicit-def: $vgpr11
	s_wait_xcnt 0x0
	v_cmpx_ne_u32_e64 v8, v39
	s_xor_b32 s24, exec_lo, s24
	s_cbranch_execz .LBB1_268
; %bb.227:                              ;   in Loop: Header=BB1_6 Depth=2
	v_lshl_add_u32 v42, v8, 2, v34
                                        ; implicit-def: $vgpr11
	s_and_saveexec_b32 s0, vcc_lo
	s_delay_alu instid0(SALU_CYCLE_1)
	s_xor_b32 s25, exec_lo, s0
	s_cbranch_execz .LBB1_237
; %bb.228:                              ;   in Loop: Header=BB1_6 Depth=2
	v_lshl_add_u32 v11, v9, 2, v33
	s_mov_b32 s26, exec_lo
	ds_load_b32 v41, v11 offset:4
	ds_load_b32 v42, v42 offset:4
                                        ; implicit-def: $vgpr11
	s_wait_dscnt 0x0
	v_cmpx_ge_i32_e64 v41, v42
	s_xor_b32 s26, exec_lo, s26
	s_cbranch_execz .LBB1_234
; %bb.229:                              ;   in Loop: Header=BB1_6 Depth=2
	v_cmp_le_i32_e64 s0, v41, v42
                                        ; implicit-def: $vgpr11
	s_and_saveexec_b32 s27, s0
	s_delay_alu instid0(SALU_CYCLE_1)
	s_xor_b32 s0, exec_lo, s27
	s_cbranch_execz .LBB1_231
; %bb.230:                              ;   in Loop: Header=BB1_6 Depth=2
	v_dual_add_nc_u32 v11, 1, v9 :: v_dual_add_nc_u32 v8, 1, v8
	global_store_b32 v[22:23], v41, off offset:8
                                        ; implicit-def: $vgpr42
                                        ; implicit-def: $vgpr9
.LBB1_231:                              ;   in Loop: Header=BB1_6 Depth=2
	s_wait_xcnt 0x0
	s_and_not1_saveexec_b32 s0, s0
	s_cbranch_execz .LBB1_233
; %bb.232:                              ;   in Loop: Header=BB1_6 Depth=2
	v_dual_mov_b32 v11, v9 :: v_dual_add_nc_u32 v8, 1, v8
	global_store_b32 v[22:23], v42, off offset:8
.LBB1_233:                              ;   in Loop: Header=BB1_6 Depth=2
	s_wait_xcnt 0x0
	s_or_b32 exec_lo, exec_lo, s0
                                        ; implicit-def: $vgpr9
                                        ; implicit-def: $vgpr41
.LBB1_234:                              ;   in Loop: Header=BB1_6 Depth=2
	s_and_not1_saveexec_b32 s0, s26
	s_cbranch_execz .LBB1_236
; %bb.235:                              ;   in Loop: Header=BB1_6 Depth=2
	v_add_nc_u32_e32 v11, 1, v9
	global_store_b32 v[22:23], v41, off offset:8
.LBB1_236:                              ;   in Loop: Header=BB1_6 Depth=2
	s_wait_xcnt 0x0
	s_or_b32 exec_lo, exec_lo, s0
                                        ; implicit-def: $vgpr42
.LBB1_237:                              ;   in Loop: Header=BB1_6 Depth=2
	s_and_not1_saveexec_b32 s0, s25
	s_cbranch_execz .LBB1_239
; %bb.238:                              ;   in Loop: Header=BB1_6 Depth=2
	ds_load_b32 v9, v42 offset:4
	v_dual_mov_b32 v11, v40 :: v_dual_add_nc_u32 v8, 1, v8
	s_wait_dscnt 0x0
	global_store_b32 v[22:23], v9, off offset:8
.LBB1_239:                              ;   in Loop: Header=BB1_6 Depth=2
	s_wait_xcnt 0x0
	s_or_b32 exec_lo, exec_lo, s0
	s_delay_alu instid0(SALU_CYCLE_1)
	s_mov_b32 s25, exec_lo
                                        ; implicit-def: $vgpr9
	s_and_not1_saveexec_b32 s0, s24
	s_cbranch_execnz .LBB1_269
.LBB1_240:                              ;   in Loop: Header=BB1_6 Depth=2
	s_or_b32 exec_lo, exec_lo, s0
	v_bfrev_b32_e32 v42, 16
	s_and_saveexec_b32 s24, s25
	s_cbranch_execnz .LBB1_272
	s_branch .LBB1_343
.LBB1_241:                              ;   in Loop: Header=BB1_6 Depth=2
	s_and_not1_saveexec_b32 s1, s25
	s_cbranch_execz .LBB1_179
.LBB1_242:                              ;   in Loop: Header=BB1_6 Depth=2
	s_mov_b32 s2, -1
	s_mov_b32 s24, s26
                                        ; implicit-def: $vgpr9
	s_and_saveexec_b32 s25, s0
	s_cbranch_execz .LBB1_244
; %bb.243:                              ;   in Loop: Header=BB1_6 Depth=2
	v_cndmask_b32_e32 v8, v1, v2, vcc_lo
	v_cndmask_b32_e64 v9, 1, 2, vcc_lo
	s_xor_b32 s2, exec_lo, -1
	s_or_b32 s24, s26, exec_lo
	global_store_b32 v[22:23], v8, off offset:8
.LBB1_244:                              ;   in Loop: Header=BB1_6 Depth=2
	s_wait_xcnt 0x0
	s_or_b32 exec_lo, exec_lo, s25
	v_mov_b32_e32 v8, v40
	s_and_not1_b32 s0, s26, exec_lo
	s_and_b32 s25, s24, exec_lo
	s_and_b32 s24, s2, exec_lo
	s_or_b32 s26, s0, s25
	s_or_b32 exec_lo, exec_lo, s1
	v_bfrev_b32_e32 v42, 16
	s_and_saveexec_b32 s1, s26
	s_cbranch_execz .LBB1_180
.LBB1_245:                              ;   in Loop: Header=BB1_6 Depth=2
	s_mov_b32 s26, 0
	s_mov_b32 s2, exec_lo
	v_cmp_ne_u32_e32 vcc_lo, v9, v39
                                        ; implicit-def: $vgpr11
	v_cmpx_ne_u32_e64 v8, v40
	s_xor_b32 s2, exec_lo, s2
	s_cbranch_execz .LBB1_287
; %bb.246:                              ;   in Loop: Header=BB1_6 Depth=2
	v_lshl_add_u32 v42, v8, 2, v32
                                        ; implicit-def: $vgpr11
	s_and_saveexec_b32 s0, vcc_lo
	s_delay_alu instid0(SALU_CYCLE_1)
	s_xor_b32 s25, exec_lo, s0
	s_cbranch_execz .LBB1_256
; %bb.247:                              ;   in Loop: Header=BB1_6 Depth=2
	scratch_load_b32 v41, v9, off offset:228 scale_offset
	ds_load_b32 v42, v42 offset:4
	s_mov_b32 s26, exec_lo
                                        ; implicit-def: $vgpr11
	s_wait_loadcnt_dscnt 0x0
	v_cmpx_ge_i32_e64 v41, v42
	s_xor_b32 s26, exec_lo, s26
	s_cbranch_execz .LBB1_253
; %bb.248:                              ;   in Loop: Header=BB1_6 Depth=2
	v_cmp_le_i32_e64 s0, v41, v42
                                        ; implicit-def: $vgpr11
	s_and_saveexec_b32 s27, s0
	s_delay_alu instid0(SALU_CYCLE_1)
	s_xor_b32 s0, exec_lo, s27
	s_cbranch_execz .LBB1_250
; %bb.249:                              ;   in Loop: Header=BB1_6 Depth=2
	v_dual_add_nc_u32 v11, 1, v9 :: v_dual_add_nc_u32 v8, 1, v8
	global_store_b32 v[22:23], v41, off offset:12
                                        ; implicit-def: $vgpr42
                                        ; implicit-def: $vgpr9
.LBB1_250:                              ;   in Loop: Header=BB1_6 Depth=2
	s_wait_xcnt 0x0
	s_and_not1_saveexec_b32 s0, s0
	s_cbranch_execz .LBB1_252
; %bb.251:                              ;   in Loop: Header=BB1_6 Depth=2
	v_dual_mov_b32 v11, v9 :: v_dual_add_nc_u32 v8, 1, v8
	global_store_b32 v[22:23], v42, off offset:12
.LBB1_252:                              ;   in Loop: Header=BB1_6 Depth=2
	s_wait_xcnt 0x0
	s_or_b32 exec_lo, exec_lo, s0
                                        ; implicit-def: $vgpr9
                                        ; implicit-def: $vgpr41
.LBB1_253:                              ;   in Loop: Header=BB1_6 Depth=2
	s_and_not1_saveexec_b32 s0, s26
	s_cbranch_execz .LBB1_255
; %bb.254:                              ;   in Loop: Header=BB1_6 Depth=2
	v_add_nc_u32_e32 v11, 1, v9
	global_store_b32 v[22:23], v41, off offset:12
.LBB1_255:                              ;   in Loop: Header=BB1_6 Depth=2
	s_wait_xcnt 0x0
	s_or_b32 exec_lo, exec_lo, s0
                                        ; implicit-def: $vgpr42
.LBB1_256:                              ;   in Loop: Header=BB1_6 Depth=2
	s_and_not1_saveexec_b32 s0, s25
	s_cbranch_execz .LBB1_258
; %bb.257:                              ;   in Loop: Header=BB1_6 Depth=2
	ds_load_b32 v9, v42 offset:4
	v_dual_mov_b32 v11, v39 :: v_dual_add_nc_u32 v8, 1, v8
	s_wait_dscnt 0x0
	global_store_b32 v[22:23], v9, off offset:12
.LBB1_258:                              ;   in Loop: Header=BB1_6 Depth=2
	s_wait_xcnt 0x0
	s_or_b32 exec_lo, exec_lo, s0
	s_delay_alu instid0(SALU_CYCLE_1)
	s_mov_b32 s26, exec_lo
                                        ; implicit-def: $vgpr9
	s_or_saveexec_b32 s0, s2
	s_mov_b32 s2, s24
	s_xor_b32 exec_lo, exec_lo, s0
	s_cbranch_execnz .LBB1_288
.LBB1_259:                              ;   in Loop: Header=BB1_6 Depth=2
	s_or_b32 exec_lo, exec_lo, s0
	v_bfrev_b32_e32 v42, 8
	s_and_saveexec_b32 s25, s26
	s_cbranch_execnz .LBB1_291
	s_branch .LBB1_352
.LBB1_260:                              ;   in Loop: Header=BB1_6 Depth=2
	s_or_b32 exec_lo, exec_lo, s3
	s_xor_b32 s0, s25, -1
                                        ; implicit-def: $vgpr8
	s_delay_alu instid0(SALU_CYCLE_1) | instskip(NEXT) | instid1(SALU_CYCLE_1)
	s_and_saveexec_b32 s1, s0
	s_xor_b32 s24, exec_lo, s1
	s_cbranch_execz .LBB1_492
; %bb.261:                              ;   in Loop: Header=BB1_6 Depth=2
	s_clause 0x1
	global_load_b128 v[8:11], v[22:23], off offset:4
	global_load_u8 v44, v[22:23], off offset:24
	global_load_b32 v45, v[14:15], off offset:4
	global_load_b32 v43, v[16:17], off offset:4
	v_dual_mov_b32 v46, v5 :: v_dual_mov_b32 v47, v6
	v_dual_mov_b32 v48, v7 :: v_dual_mov_b32 v49, v26
	v_mov_b32_e32 v5, 0
	s_clause 0x1
	scratch_store_b128 off, v[46:49], off offset:88
	scratch_store_b32 off, v27, off offset:104
	s_wait_loadcnt 0x4
	scratch_store_b8 off, v0, off offset:108
	s_wait_loadcnt 0x3
	s_clause 0x1
	scratch_store_b128 off, v[8:11], off offset:116
	scratch_store_b32 off, v41, off offset:132
	s_wait_loadcnt 0x2
	scratch_store_b8 off, v44, off offset:136
	s_wait_xcnt 0x0
	s_and_saveexec_b32 s2, vcc_lo
	s_cbranch_execz .LBB1_307
; %bb.262:                              ;   in Loop: Header=BB1_6 Depth=2
	v_cmp_ne_u32_e64 s0, 0, v40
	v_mov_b32_e32 v5, 0
	s_mov_b32 s3, 0
	s_mov_b32 s25, 0
	s_branch .LBB1_264
.LBB1_263:                              ;   in Loop: Header=BB1_264 Depth=3
	s_or_b32 exec_lo, exec_lo, s26
	s_add_co_i32 s25, s25, 1
	s_delay_alu instid0(SALU_CYCLE_1) | instskip(SKIP_1) | instid1(SALU_CYCLE_1)
	v_cmp_eq_u32_e64 s1, s25, v42
	s_or_b32 s3, s1, s3
	s_and_not1_b32 exec_lo, exec_lo, s3
	s_cbranch_execz .LBB1_306
.LBB1_264:                              ;   Parent Loop BB1_3 Depth=1
                                        ;     Parent Loop BB1_6 Depth=2
                                        ; =>    This Loop Header: Depth=3
                                        ;         Child Loop BB1_266 Depth 4
	s_and_saveexec_b32 s26, s0
	s_cbranch_execz .LBB1_263
; %bb.265:                              ;   in Loop: Header=BB1_264 Depth=3
	s_lshl_b32 s1, s25, 2
	v_mov_b32_e32 v6, v40
	s_addk_co_i32 s1, 0x70
	s_lshl_b32 s28, 1, s25
	scratch_load_b32 v0, off, s1 offset:4
	s_mov_b32 s27, 0
	s_mov_b32 s29, s4
.LBB1_266:                              ;   Parent Loop BB1_3 Depth=1
                                        ;     Parent Loop BB1_6 Depth=2
                                        ;       Parent Loop BB1_264 Depth=3
                                        ; =>      This Inner Loop Header: Depth=4
	scratch_load_b32 v7, off, s29
	s_wait_xcnt 0x0
	s_add_co_i32 s29, s29, 4
	s_wait_loadcnt 0x0
	v_cmp_eq_u32_e64 s1, v7, v0
	s_delay_alu instid0(VALU_DEP_1) | instskip(NEXT) | instid1(VALU_DEP_1)
	v_cndmask_b32_e64 v7, 0, s28, s1
	v_dual_add_nc_u32 v6, -1, v6 :: v_dual_bitop2_b32 v5, v7, v5 bitop3:0x54
	s_delay_alu instid0(VALU_DEP_1) | instskip(SKIP_1) | instid1(SALU_CYCLE_1)
	v_cmp_eq_u32_e64 s1, 0, v6
	s_or_b32 s27, s1, s27
	s_and_not1_b32 exec_lo, exec_lo, s27
	s_cbranch_execnz .LBB1_266
; %bb.267:                              ;   in Loop: Header=BB1_264 Depth=3
	s_or_b32 exec_lo, exec_lo, s27
	s_branch .LBB1_263
.LBB1_268:                              ;   in Loop: Header=BB1_6 Depth=2
	s_and_not1_saveexec_b32 s0, s24
	s_cbranch_execz .LBB1_240
.LBB1_269:                              ;   in Loop: Header=BB1_6 Depth=2
	s_mov_b32 s23, -1
	s_mov_b32 s24, s25
                                        ; implicit-def: $vgpr11
	s_and_saveexec_b32 s26, vcc_lo
	s_cbranch_execz .LBB1_271
; %bb.270:                              ;   in Loop: Header=BB1_6 Depth=2
	v_lshl_add_u32 v8, v9, 2, v33
	v_add_nc_u32_e32 v11, 1, v9
	s_xor_b32 s23, exec_lo, -1
	s_or_b32 s24, s25, exec_lo
	ds_load_b32 v8, v8 offset:4
	s_wait_dscnt 0x0
	global_store_b32 v[22:23], v8, off offset:8
.LBB1_271:                              ;   in Loop: Header=BB1_6 Depth=2
	s_wait_xcnt 0x0
	s_or_b32 exec_lo, exec_lo, s26
	v_mov_b32_e32 v8, v39
	s_and_not1_b32 s25, s25, exec_lo
	s_and_b32 s24, s24, exec_lo
	s_and_b32 s23, s23, exec_lo
	s_or_b32 s25, s25, s24
	s_or_b32 exec_lo, exec_lo, s0
	v_bfrev_b32_e32 v42, 16
	s_and_saveexec_b32 s24, s25
	s_cbranch_execz .LBB1_343
.LBB1_272:                              ;   in Loop: Header=BB1_6 Depth=2
	s_mov_b32 s27, 0
	s_mov_b32 s25, exec_lo
	v_cmp_ne_u32_e32 vcc_lo, v11, v40
                                        ; implicit-def: $vgpr9
	v_cmpx_ne_u32_e64 v8, v39
	s_xor_b32 s25, exec_lo, s25
	s_cbranch_execz .LBB1_321
; %bb.273:                              ;   in Loop: Header=BB1_6 Depth=2
	v_lshl_add_u32 v42, v8, 2, v34
                                        ; implicit-def: $vgpr9
	s_and_saveexec_b32 s0, vcc_lo
	s_delay_alu instid0(SALU_CYCLE_1)
	s_xor_b32 s26, exec_lo, s0
	s_cbranch_execz .LBB1_283
; %bb.274:                              ;   in Loop: Header=BB1_6 Depth=2
	v_lshl_add_u32 v9, v11, 2, v33
	s_mov_b32 s27, exec_lo
	ds_load_b32 v41, v9 offset:4
	ds_load_b32 v42, v42 offset:4
                                        ; implicit-def: $vgpr9
	s_wait_dscnt 0x0
	v_cmpx_ge_i32_e64 v41, v42
	s_xor_b32 s27, exec_lo, s27
	s_cbranch_execz .LBB1_280
; %bb.275:                              ;   in Loop: Header=BB1_6 Depth=2
	v_cmp_le_i32_e64 s0, v41, v42
                                        ; implicit-def: $vgpr9
	s_and_saveexec_b32 s28, s0
	s_delay_alu instid0(SALU_CYCLE_1)
	s_xor_b32 s0, exec_lo, s28
	s_cbranch_execz .LBB1_277
; %bb.276:                              ;   in Loop: Header=BB1_6 Depth=2
	v_dual_add_nc_u32 v9, 1, v11 :: v_dual_add_nc_u32 v8, 1, v8
	global_store_b32 v[22:23], v41, off offset:12
                                        ; implicit-def: $vgpr42
                                        ; implicit-def: $vgpr11
.LBB1_277:                              ;   in Loop: Header=BB1_6 Depth=2
	s_wait_xcnt 0x0
	s_and_not1_saveexec_b32 s0, s0
	s_cbranch_execz .LBB1_279
; %bb.278:                              ;   in Loop: Header=BB1_6 Depth=2
	v_dual_mov_b32 v9, v11 :: v_dual_add_nc_u32 v8, 1, v8
	global_store_b32 v[22:23], v42, off offset:12
.LBB1_279:                              ;   in Loop: Header=BB1_6 Depth=2
	s_wait_xcnt 0x0
	s_or_b32 exec_lo, exec_lo, s0
                                        ; implicit-def: $vgpr11
                                        ; implicit-def: $vgpr41
.LBB1_280:                              ;   in Loop: Header=BB1_6 Depth=2
	s_and_not1_saveexec_b32 s0, s27
	s_cbranch_execz .LBB1_282
; %bb.281:                              ;   in Loop: Header=BB1_6 Depth=2
	v_add_nc_u32_e32 v9, 1, v11
	global_store_b32 v[22:23], v41, off offset:12
.LBB1_282:                              ;   in Loop: Header=BB1_6 Depth=2
	s_wait_xcnt 0x0
	s_or_b32 exec_lo, exec_lo, s0
                                        ; implicit-def: $vgpr42
.LBB1_283:                              ;   in Loop: Header=BB1_6 Depth=2
	s_and_not1_saveexec_b32 s0, s26
	s_cbranch_execz .LBB1_285
; %bb.284:                              ;   in Loop: Header=BB1_6 Depth=2
	ds_load_b32 v11, v42 offset:4
	v_dual_mov_b32 v9, v40 :: v_dual_add_nc_u32 v8, 1, v8
	s_wait_dscnt 0x0
	global_store_b32 v[22:23], v11, off offset:12
.LBB1_285:                              ;   in Loop: Header=BB1_6 Depth=2
	s_wait_xcnt 0x0
	s_or_b32 exec_lo, exec_lo, s0
	s_delay_alu instid0(SALU_CYCLE_1)
	s_mov_b32 s27, exec_lo
                                        ; implicit-def: $vgpr11
	s_or_saveexec_b32 s0, s25
	s_mov_b32 s25, s23
	s_xor_b32 exec_lo, exec_lo, s0
	s_cbranch_execnz .LBB1_322
.LBB1_286:                              ;   in Loop: Header=BB1_6 Depth=2
	s_or_b32 exec_lo, exec_lo, s0
	v_bfrev_b32_e32 v42, 8
	s_and_saveexec_b32 s26, s27
	s_cbranch_execnz .LBB1_325
	s_branch .LBB1_342
.LBB1_287:                              ;   in Loop: Header=BB1_6 Depth=2
	s_or_saveexec_b32 s0, s2
	s_mov_b32 s2, s24
	s_xor_b32 exec_lo, exec_lo, s0
	s_cbranch_execz .LBB1_259
.LBB1_288:                              ;   in Loop: Header=BB1_6 Depth=2
	s_mov_b32 s25, -1
	s_mov_b32 s2, s26
                                        ; implicit-def: $vgpr11
	s_and_saveexec_b32 s27, vcc_lo
	s_cbranch_execz .LBB1_290
; %bb.289:                              ;   in Loop: Header=BB1_6 Depth=2
	scratch_load_b32 v8, v9, off offset:228 scale_offset
	v_add_nc_u32_e32 v11, 1, v9
	s_xor_b32 s25, exec_lo, -1
	s_or_b32 s2, s26, exec_lo
	s_wait_loadcnt 0x0
	global_store_b32 v[22:23], v8, off offset:12
.LBB1_290:                              ;   in Loop: Header=BB1_6 Depth=2
	s_wait_xcnt 0x0
	s_or_b32 exec_lo, exec_lo, s27
	v_mov_b32_e32 v8, v40
	s_and_not1_b32 s27, s24, exec_lo
	s_and_b32 s25, s25, exec_lo
	s_and_not1_b32 s26, s26, exec_lo
	s_and_b32 s28, s2, exec_lo
	s_or_b32 s2, s27, s25
	s_or_b32 s26, s26, s28
	s_or_b32 exec_lo, exec_lo, s0
	v_bfrev_b32_e32 v42, 8
	s_and_saveexec_b32 s25, s26
	s_cbranch_execz .LBB1_352
.LBB1_291:                              ;   in Loop: Header=BB1_6 Depth=2
	s_mov_b32 s27, 0
	s_mov_b32 s26, exec_lo
	v_cmp_ne_u32_e32 vcc_lo, v11, v39
                                        ; implicit-def: $vgpr9
	v_cmpx_ne_u32_e64 v8, v40
	s_xor_b32 s26, exec_lo, s26
	s_cbranch_execz .LBB1_344
; %bb.292:                              ;   in Loop: Header=BB1_6 Depth=2
	v_lshl_add_u32 v42, v8, 2, v32
                                        ; implicit-def: $vgpr9
	s_and_saveexec_b32 s0, vcc_lo
	s_delay_alu instid0(SALU_CYCLE_1)
	s_xor_b32 s27, exec_lo, s0
	s_cbranch_execz .LBB1_302
; %bb.293:                              ;   in Loop: Header=BB1_6 Depth=2
	scratch_load_b32 v41, v11, off offset:228 scale_offset
	ds_load_b32 v42, v42 offset:4
	s_mov_b32 s28, exec_lo
                                        ; implicit-def: $vgpr9
	s_wait_loadcnt_dscnt 0x0
	v_cmpx_ge_i32_e64 v41, v42
	s_xor_b32 s28, exec_lo, s28
	s_cbranch_execz .LBB1_299
; %bb.294:                              ;   in Loop: Header=BB1_6 Depth=2
	v_cmp_le_i32_e64 s0, v41, v42
                                        ; implicit-def: $vgpr9
	s_and_saveexec_b32 s29, s0
	s_delay_alu instid0(SALU_CYCLE_1)
	s_xor_b32 s0, exec_lo, s29
	s_cbranch_execz .LBB1_296
; %bb.295:                              ;   in Loop: Header=BB1_6 Depth=2
	v_dual_add_nc_u32 v9, 1, v11 :: v_dual_add_nc_u32 v8, 1, v8
	global_store_b32 v[22:23], v41, off offset:16
                                        ; implicit-def: $vgpr42
                                        ; implicit-def: $vgpr11
.LBB1_296:                              ;   in Loop: Header=BB1_6 Depth=2
	s_wait_xcnt 0x0
	s_and_not1_saveexec_b32 s0, s0
	s_cbranch_execz .LBB1_298
; %bb.297:                              ;   in Loop: Header=BB1_6 Depth=2
	v_dual_mov_b32 v9, v11 :: v_dual_add_nc_u32 v8, 1, v8
	global_store_b32 v[22:23], v42, off offset:16
.LBB1_298:                              ;   in Loop: Header=BB1_6 Depth=2
	s_wait_xcnt 0x0
	s_or_b32 exec_lo, exec_lo, s0
                                        ; implicit-def: $vgpr11
                                        ; implicit-def: $vgpr41
.LBB1_299:                              ;   in Loop: Header=BB1_6 Depth=2
	s_and_not1_saveexec_b32 s0, s28
	s_cbranch_execz .LBB1_301
; %bb.300:                              ;   in Loop: Header=BB1_6 Depth=2
	v_add_nc_u32_e32 v9, 1, v11
	global_store_b32 v[22:23], v41, off offset:16
.LBB1_301:                              ;   in Loop: Header=BB1_6 Depth=2
	s_wait_xcnt 0x0
	s_or_b32 exec_lo, exec_lo, s0
                                        ; implicit-def: $vgpr42
.LBB1_302:                              ;   in Loop: Header=BB1_6 Depth=2
	s_and_not1_saveexec_b32 s0, s27
	s_cbranch_execz .LBB1_304
; %bb.303:                              ;   in Loop: Header=BB1_6 Depth=2
	ds_load_b32 v11, v42 offset:4
	v_dual_mov_b32 v9, v39 :: v_dual_add_nc_u32 v8, 1, v8
	s_wait_dscnt 0x0
	global_store_b32 v[22:23], v11, off offset:16
.LBB1_304:                              ;   in Loop: Header=BB1_6 Depth=2
	s_wait_xcnt 0x0
	s_or_b32 exec_lo, exec_lo, s0
	s_delay_alu instid0(SALU_CYCLE_1)
	s_mov_b32 s27, exec_lo
                                        ; implicit-def: $vgpr11
	s_or_saveexec_b32 s0, s26
	s_mov_b32 s26, s2
	s_xor_b32 exec_lo, exec_lo, s0
	s_cbranch_execnz .LBB1_345
.LBB1_305:                              ;   in Loop: Header=BB1_6 Depth=2
	s_or_b32 exec_lo, exec_lo, s0
	v_bfrev_b32_e32 v42, 24
	s_and_saveexec_b32 s28, s27
	s_cbranch_execnz .LBB1_348
	s_branch .LBB1_351
.LBB1_306:                              ;   in Loop: Header=BB1_6 Depth=2
	s_or_b32 exec_lo, exec_lo, s3
.LBB1_307:                              ;   in Loop: Header=BB1_6 Depth=2
	s_delay_alu instid0(SALU_CYCLE_1)
	s_or_b32 exec_lo, exec_lo, s2
	s_wait_loadcnt 0x1
	v_cmp_ne_u32_e64 s0, 0, v45
	v_dual_add_nc_u32 v0, -1, v40 :: v_dual_bitop2_b32 v7, 8, v5 bitop3:0x40
	s_mov_b32 s1, exec_lo
	v_cndmask_b32_e64 v6, 0, -1, s0
	s_delay_alu instid0(VALU_DEP_1) | instskip(NEXT) | instid1(VALU_DEP_3)
	v_xor_b32_e32 v6, v27, v6
	v_cmpx_ne_u32_e32 0, v7
	s_cbranch_execz .LBB1_355
; %bb.308:                              ;   in Loop: Header=BB1_6 Depth=2
	s_mov_b32 s2, exec_lo
	v_cmpx_gt_u32_e32 4, v40
	s_cbranch_execz .LBB1_354
; %bb.309:                              ;   in Loop: Header=BB1_6 Depth=2
	s_mov_b32 s3, 0
	s_branch .LBB1_312
.LBB1_310:                              ;   in Loop: Header=BB1_312 Depth=3
	s_or_b32 exec_lo, exec_lo, s26
.LBB1_311:                              ;   in Loop: Header=BB1_312 Depth=3
	s_delay_alu instid0(SALU_CYCLE_1) | instskip(SKIP_1) | instid1(VALU_DEP_1)
	s_or_b32 exec_lo, exec_lo, s25
	v_add_nc_u32_e32 v0, 1, v0
	v_cmp_lt_u32_e64 s0, 2, v0
	s_or_b32 s3, s0, s3
	s_delay_alu instid0(SALU_CYCLE_1)
	s_and_not1_b32 exec_lo, exec_lo, s3
	s_cbranch_execz .LBB1_353
.LBB1_312:                              ;   Parent Loop BB1_3 Depth=1
                                        ;     Parent Loop BB1_6 Depth=2
                                        ; =>    This Inner Loop Header: Depth=3
	v_mov_b32_e32 v7, v6
	s_mov_b32 s25, exec_lo
	v_cmpx_lt_i32_e32 0, v0
	s_xor_b32 s25, exec_lo, s25
	s_cbranch_execz .LBB1_318
; %bb.313:                              ;   in Loop: Header=BB1_312 Depth=3
	v_cmp_lt_i32_e64 s0, 1, v0
	s_and_saveexec_b32 s26, s0
	s_delay_alu instid0(SALU_CYCLE_1)
	s_xor_b32 s0, exec_lo, s26
; %bb.314:                              ;   in Loop: Header=BB1_312 Depth=3
	v_dual_lshlrev_b32 v7, 4, v6 :: v_dual_lshrrev_b32 v26, 4, v6
	v_and_b32_e32 v6, 0xf00ff00f, v6
	s_delay_alu instid0(VALU_DEP_2) | instskip(NEXT) | instid1(VALU_DEP_3)
	v_and_b32_e32 v7, 0xf000f00, v7
	v_and_b32_e32 v26, 0xf000f0, v26
	s_delay_alu instid0(VALU_DEP_1)
	v_or3_b32 v6, v7, v6, v26
; %bb.315:                              ;   in Loop: Header=BB1_312 Depth=3
	s_and_not1_saveexec_b32 s0, s0
; %bb.316:                              ;   in Loop: Header=BB1_312 Depth=3
	s_delay_alu instid0(VALU_DEP_1) | instskip(SKIP_1) | instid1(VALU_DEP_2)
	v_dual_lshlrev_b32 v7, 2, v6 :: v_dual_lshrrev_b32 v26, 2, v6
	v_and_b32_e32 v6, 0xc3c3c3c3, v6
	v_and_b32_e32 v7, 0x30303030, v7
	s_delay_alu instid0(VALU_DEP_3) | instskip(NEXT) | instid1(VALU_DEP_1)
	v_and_b32_e32 v26, 0xc0c0c0c, v26
	v_or3_b32 v6, v7, v6, v26
; %bb.317:                              ;   in Loop: Header=BB1_312 Depth=3
	s_or_b32 exec_lo, exec_lo, s0
                                        ; implicit-def: $vgpr7
.LBB1_318:                              ;   in Loop: Header=BB1_312 Depth=3
	s_and_not1_saveexec_b32 s25, s25
	s_cbranch_execz .LBB1_311
; %bb.319:                              ;   in Loop: Header=BB1_312 Depth=3
	v_mov_b32_e32 v6, 0
	s_mov_b32 s26, exec_lo
	v_cmpx_eq_u32_e32 0, v0
	s_cbranch_execz .LBB1_310
; %bb.320:                              ;   in Loop: Header=BB1_312 Depth=3
	v_dual_lshlrev_b32 v6, 1, v7 :: v_dual_lshrrev_b32 v26, 1, v7
	v_and_b32_e32 v7, 0x99999999, v7
	s_delay_alu instid0(VALU_DEP_2) | instskip(NEXT) | instid1(VALU_DEP_3)
	v_and_b32_e32 v6, 0x44444444, v6
	v_and_b32_e32 v26, 0x22222222, v26
	s_delay_alu instid0(VALU_DEP_1)
	v_or3_b32 v6, v6, v7, v26
	s_branch .LBB1_310
.LBB1_321:                              ;   in Loop: Header=BB1_6 Depth=2
	s_or_saveexec_b32 s0, s25
	s_mov_b32 s25, s23
	s_xor_b32 exec_lo, exec_lo, s0
	s_cbranch_execz .LBB1_286
.LBB1_322:                              ;   in Loop: Header=BB1_6 Depth=2
	s_mov_b32 s26, -1
	s_mov_b32 s25, s27
                                        ; implicit-def: $vgpr9
	s_and_saveexec_b32 s28, vcc_lo
	s_cbranch_execz .LBB1_324
; %bb.323:                              ;   in Loop: Header=BB1_6 Depth=2
	v_lshl_add_u32 v8, v11, 2, v33
	v_add_nc_u32_e32 v9, 1, v11
	s_xor_b32 s26, exec_lo, -1
	s_or_b32 s25, s27, exec_lo
	ds_load_b32 v8, v8 offset:4
	s_wait_dscnt 0x0
	global_store_b32 v[22:23], v8, off offset:12
.LBB1_324:                              ;   in Loop: Header=BB1_6 Depth=2
	s_wait_xcnt 0x0
	s_or_b32 exec_lo, exec_lo, s28
	v_mov_b32_e32 v8, v39
	s_and_not1_b32 s28, s23, exec_lo
	s_and_b32 s26, s26, exec_lo
	s_and_not1_b32 s27, s27, exec_lo
	s_and_b32 s29, s25, exec_lo
	s_or_b32 s25, s28, s26
	s_or_b32 s27, s27, s29
	s_or_b32 exec_lo, exec_lo, s0
	v_bfrev_b32_e32 v42, 8
	s_and_saveexec_b32 s26, s27
	s_cbranch_execz .LBB1_342
.LBB1_325:                              ;   in Loop: Header=BB1_6 Depth=2
	s_mov_b32 s28, 0
	s_mov_b32 s27, exec_lo
	v_cmp_ne_u32_e32 vcc_lo, v9, v40
                                        ; implicit-def: $vgpr11
	v_cmpx_ne_u32_e64 v8, v39
	s_xor_b32 s27, exec_lo, s27
	s_cbranch_execz .LBB1_365
; %bb.326:                              ;   in Loop: Header=BB1_6 Depth=2
	v_lshl_add_u32 v42, v8, 2, v34
                                        ; implicit-def: $vgpr11
	s_and_saveexec_b32 s0, vcc_lo
	s_delay_alu instid0(SALU_CYCLE_1)
	s_xor_b32 s28, exec_lo, s0
	s_cbranch_execz .LBB1_336
; %bb.327:                              ;   in Loop: Header=BB1_6 Depth=2
	v_lshl_add_u32 v11, v9, 2, v33
	s_mov_b32 s29, exec_lo
	ds_load_b32 v41, v11 offset:4
	ds_load_b32 v42, v42 offset:4
                                        ; implicit-def: $vgpr11
	s_wait_dscnt 0x0
	v_cmpx_ge_i32_e64 v41, v42
	s_xor_b32 s29, exec_lo, s29
	s_cbranch_execz .LBB1_333
; %bb.328:                              ;   in Loop: Header=BB1_6 Depth=2
	v_cmp_le_i32_e64 s0, v41, v42
                                        ; implicit-def: $vgpr11
	s_and_saveexec_b32 s30, s0
	s_delay_alu instid0(SALU_CYCLE_1)
	s_xor_b32 s0, exec_lo, s30
	s_cbranch_execz .LBB1_330
; %bb.329:                              ;   in Loop: Header=BB1_6 Depth=2
	v_dual_add_nc_u32 v11, 1, v9 :: v_dual_add_nc_u32 v8, 1, v8
	global_store_b32 v[22:23], v41, off offset:16
                                        ; implicit-def: $vgpr42
                                        ; implicit-def: $vgpr9
.LBB1_330:                              ;   in Loop: Header=BB1_6 Depth=2
	s_wait_xcnt 0x0
	s_and_not1_saveexec_b32 s0, s0
	s_cbranch_execz .LBB1_332
; %bb.331:                              ;   in Loop: Header=BB1_6 Depth=2
	v_dual_mov_b32 v11, v9 :: v_dual_add_nc_u32 v8, 1, v8
	global_store_b32 v[22:23], v42, off offset:16
.LBB1_332:                              ;   in Loop: Header=BB1_6 Depth=2
	s_wait_xcnt 0x0
	s_or_b32 exec_lo, exec_lo, s0
                                        ; implicit-def: $vgpr9
                                        ; implicit-def: $vgpr41
.LBB1_333:                              ;   in Loop: Header=BB1_6 Depth=2
	s_and_not1_saveexec_b32 s0, s29
	s_cbranch_execz .LBB1_335
; %bb.334:                              ;   in Loop: Header=BB1_6 Depth=2
	v_add_nc_u32_e32 v11, 1, v9
	global_store_b32 v[22:23], v41, off offset:16
.LBB1_335:                              ;   in Loop: Header=BB1_6 Depth=2
	s_wait_xcnt 0x0
	s_or_b32 exec_lo, exec_lo, s0
                                        ; implicit-def: $vgpr42
.LBB1_336:                              ;   in Loop: Header=BB1_6 Depth=2
	s_and_not1_saveexec_b32 s0, s28
	s_cbranch_execz .LBB1_338
; %bb.337:                              ;   in Loop: Header=BB1_6 Depth=2
	ds_load_b32 v9, v42 offset:4
	v_dual_mov_b32 v11, v40 :: v_dual_add_nc_u32 v8, 1, v8
	s_wait_dscnt 0x0
	global_store_b32 v[22:23], v9, off offset:16
.LBB1_338:                              ;   in Loop: Header=BB1_6 Depth=2
	s_wait_xcnt 0x0
	s_or_b32 exec_lo, exec_lo, s0
	s_delay_alu instid0(SALU_CYCLE_1)
	s_mov_b32 s28, exec_lo
                                        ; implicit-def: $vgpr9
	s_or_saveexec_b32 s0, s27
	s_mov_b32 s27, s25
	s_xor_b32 exec_lo, exec_lo, s0
	s_cbranch_execnz .LBB1_366
.LBB1_339:                              ;   in Loop: Header=BB1_6 Depth=2
	s_or_b32 exec_lo, exec_lo, s0
	v_bfrev_b32_e32 v42, 24
	s_and_saveexec_b32 s29, s28
.LBB1_340:                              ;   in Loop: Header=BB1_6 Depth=2
	v_cmp_ge_u32_e32 vcc_lo, v11, v40
	v_cmp_ge_u32_e64 s0, v8, v39
	v_bfrev_b32_e32 v42, 4
	s_and_not1_b32 s27, s27, exec_lo
	s_and_b32 s0, vcc_lo, s0
	s_delay_alu instid0(SALU_CYCLE_1) | instskip(NEXT) | instid1(SALU_CYCLE_1)
	s_and_b32 s0, s0, exec_lo
	s_or_b32 s27, s27, s0
.LBB1_341:                              ;   in Loop: Header=BB1_6 Depth=2
	s_or_b32 exec_lo, exec_lo, s29
	s_delay_alu instid0(SALU_CYCLE_1) | instskip(SKIP_1) | instid1(SALU_CYCLE_1)
	s_and_not1_b32 s0, s25, exec_lo
	s_and_b32 s25, s27, exec_lo
	s_or_b32 s25, s0, s25
.LBB1_342:                              ;   in Loop: Header=BB1_6 Depth=2
	s_or_b32 exec_lo, exec_lo, s26
	s_delay_alu instid0(SALU_CYCLE_1) | instskip(SKIP_1) | instid1(SALU_CYCLE_1)
	s_and_not1_b32 s0, s23, exec_lo
	s_and_b32 s23, s25, exec_lo
	s_or_b32 s23, s0, s23
.LBB1_343:                              ;   in Loop: Header=BB1_6 Depth=2
	s_or_b32 exec_lo, exec_lo, s24
	s_delay_alu instid0(SALU_CYCLE_1) | instskip(SKIP_1) | instid1(SALU_CYCLE_1)
	s_and_not1_b32 s0, s2, exec_lo
	s_and_b32 s2, s23, exec_lo
	s_or_b32 s2, s0, s2
	s_or_b32 exec_lo, exec_lo, s3
	s_mov_b32 s0, 0
                                        ; implicit-def: $vgpr41
	s_and_saveexec_b32 s3, s2
	s_cbranch_execz .LBB1_162
	s_branch .LBB1_161
.LBB1_344:                              ;   in Loop: Header=BB1_6 Depth=2
	s_or_saveexec_b32 s0, s26
	s_mov_b32 s26, s2
	s_xor_b32 exec_lo, exec_lo, s0
	s_cbranch_execz .LBB1_305
.LBB1_345:                              ;   in Loop: Header=BB1_6 Depth=2
	s_mov_b32 s28, -1
	s_mov_b32 s26, s27
                                        ; implicit-def: $vgpr9
	s_and_saveexec_b32 s29, vcc_lo
	s_cbranch_execz .LBB1_347
; %bb.346:                              ;   in Loop: Header=BB1_6 Depth=2
	scratch_load_b32 v8, v11, off offset:228 scale_offset
	v_add_nc_u32_e32 v9, 1, v11
	s_xor_b32 s28, exec_lo, -1
	s_or_b32 s26, s27, exec_lo
	s_wait_loadcnt 0x0
	global_store_b32 v[22:23], v8, off offset:16
.LBB1_347:                              ;   in Loop: Header=BB1_6 Depth=2
	s_wait_xcnt 0x0
	s_or_b32 exec_lo, exec_lo, s29
	v_mov_b32_e32 v8, v40
	s_and_not1_b32 s29, s2, exec_lo
	s_and_b32 s28, s28, exec_lo
	s_and_not1_b32 s27, s27, exec_lo
	s_and_b32 s30, s26, exec_lo
	s_or_b32 s26, s29, s28
	s_or_b32 s27, s27, s30
	s_or_b32 exec_lo, exec_lo, s0
	v_bfrev_b32_e32 v42, 24
	s_and_saveexec_b32 s28, s27
	s_cbranch_execz .LBB1_351
.LBB1_348:                              ;   in Loop: Header=BB1_6 Depth=2
	v_cmp_lt_u32_e32 vcc_lo, v9, v39
	v_cmp_lt_u32_e64 s0, v8, v40
	s_or_b32 s29, vcc_lo, s0
	s_mov_b32 s0, -1
	s_and_saveexec_b32 s27, s29
; %bb.349:                              ;   in Loop: Header=BB1_6 Depth=2
	s_xor_b32 s0, exec_lo, -1
; %bb.350:                              ;   in Loop: Header=BB1_6 Depth=2
	s_or_b32 exec_lo, exec_lo, s27
	v_bfrev_b32_e32 v42, 4
	s_and_not1_b32 s26, s26, exec_lo
	s_and_b32 s0, s0, exec_lo
	s_delay_alu instid0(SALU_CYCLE_1)
	s_or_b32 s26, s26, s0
.LBB1_351:                              ;   in Loop: Header=BB1_6 Depth=2
	s_or_b32 exec_lo, exec_lo, s28
	s_delay_alu instid0(SALU_CYCLE_1) | instskip(SKIP_1) | instid1(SALU_CYCLE_1)
	s_and_not1_b32 s0, s2, exec_lo
	s_and_b32 s2, s26, exec_lo
	s_or_b32 s2, s0, s2
.LBB1_352:                              ;   in Loop: Header=BB1_6 Depth=2
	s_or_b32 exec_lo, exec_lo, s25
	s_delay_alu instid0(SALU_CYCLE_1) | instskip(SKIP_1) | instid1(SALU_CYCLE_1)
	s_and_not1_b32 s0, s24, exec_lo
	s_and_b32 s2, s2, exec_lo
	s_or_b32 s24, s0, s2
	s_or_b32 exec_lo, exec_lo, s1
	s_mov_b32 s0, s3
                                        ; implicit-def: $vgpr41
	s_and_saveexec_b32 s1, s24
	s_cbranch_execz .LBB1_182
	s_branch .LBB1_181
.LBB1_353:                              ;   in Loop: Header=BB1_6 Depth=2
	s_or_b32 exec_lo, exec_lo, s3
.LBB1_354:                              ;   in Loop: Header=BB1_6 Depth=2
	s_delay_alu instid0(SALU_CYCLE_1)
	s_or_b32 exec_lo, exec_lo, s2
	v_add_nc_u32_e32 v0, -2, v40
.LBB1_355:                              ;   in Loop: Header=BB1_6 Depth=2
	s_or_b32 exec_lo, exec_lo, s1
	v_and_b32_e32 v7, 4, v5
	s_mov_b32 s1, exec_lo
	s_delay_alu instid0(VALU_DEP_1)
	v_cmpx_ne_u32_e32 0, v7
	s_cbranch_execz .LBB1_371
; %bb.356:                              ;   in Loop: Header=BB1_6 Depth=2
	s_mov_b32 s2, exec_lo
	v_cmpx_gt_i32_e32 2, v0
	s_cbranch_execz .LBB1_370
; %bb.357:                              ;   in Loop: Header=BB1_6 Depth=2
	v_mov_b32_e32 v7, v0
	s_mov_b32 s3, 0
	s_branch .LBB1_360
.LBB1_358:                              ;   in Loop: Header=BB1_360 Depth=3
	s_or_b32 exec_lo, exec_lo, s26
.LBB1_359:                              ;   in Loop: Header=BB1_360 Depth=3
	s_delay_alu instid0(SALU_CYCLE_1) | instskip(SKIP_2) | instid1(VALU_DEP_2)
	s_or_b32 exec_lo, exec_lo, s25
	v_add_nc_u32_e32 v26, 1, v7
	v_cmp_lt_i32_e64 s0, 0, v7
	v_mov_b32_e32 v7, v26
	s_or_b32 s3, s0, s3
	s_delay_alu instid0(SALU_CYCLE_1)
	s_and_not1_b32 exec_lo, exec_lo, s3
	s_cbranch_execz .LBB1_369
.LBB1_360:                              ;   Parent Loop BB1_3 Depth=1
                                        ;     Parent Loop BB1_6 Depth=2
                                        ; =>    This Inner Loop Header: Depth=3
	s_delay_alu instid0(VALU_DEP_1) | instskip(SKIP_2) | instid1(SALU_CYCLE_1)
	v_cmp_lt_i32_e64 s0, 0, v7
	v_mov_b32_e32 v26, v6
	s_and_saveexec_b32 s25, s0
	s_xor_b32 s0, exec_lo, s25
; %bb.361:                              ;   in Loop: Header=BB1_360 Depth=3
	v_dual_lshlrev_b32 v26, 2, v6 :: v_dual_lshrrev_b32 v27, 2, v6
	v_and_b32_e32 v6, 0xc3c3c3c3, v6
	s_delay_alu instid0(VALU_DEP_2) | instskip(NEXT) | instid1(VALU_DEP_3)
	v_and_b32_e32 v26, 0x30303030, v26
	v_and_b32_e32 v27, 0xc0c0c0c, v27
	s_delay_alu instid0(VALU_DEP_1)
	v_or3_b32 v6, v26, v6, v27
                                        ; implicit-def: $vgpr26
; %bb.362:                              ;   in Loop: Header=BB1_360 Depth=3
	s_and_not1_saveexec_b32 s25, s0
	s_cbranch_execz .LBB1_359
; %bb.363:                              ;   in Loop: Header=BB1_360 Depth=3
	v_mov_b32_e32 v6, 0
	s_mov_b32 s26, exec_lo
	v_cmpx_eq_u32_e32 0, v7
	s_cbranch_execz .LBB1_358
; %bb.364:                              ;   in Loop: Header=BB1_360 Depth=3
	v_dual_lshlrev_b32 v6, 1, v26 :: v_dual_lshrrev_b32 v27, 1, v26
	v_and_b32_e32 v26, 0x99999999, v26
	s_delay_alu instid0(VALU_DEP_2) | instskip(NEXT) | instid1(VALU_DEP_3)
	v_and_b32_e32 v6, 0x44444444, v6
	v_and_b32_e32 v27, 0x22222222, v27
	s_delay_alu instid0(VALU_DEP_1)
	v_or3_b32 v6, v6, v26, v27
	s_branch .LBB1_358
.LBB1_365:                              ;   in Loop: Header=BB1_6 Depth=2
	s_or_saveexec_b32 s0, s27
	s_mov_b32 s27, s25
	s_xor_b32 exec_lo, exec_lo, s0
	s_cbranch_execz .LBB1_339
.LBB1_366:                              ;   in Loop: Header=BB1_6 Depth=2
	s_mov_b32 s29, -1
	s_mov_b32 s27, s28
                                        ; implicit-def: $vgpr11
	s_and_saveexec_b32 s30, vcc_lo
	s_cbranch_execz .LBB1_368
; %bb.367:                              ;   in Loop: Header=BB1_6 Depth=2
	v_lshl_add_u32 v8, v9, 2, v33
	v_add_nc_u32_e32 v11, 1, v9
	s_xor_b32 s29, exec_lo, -1
	s_or_b32 s27, s28, exec_lo
	ds_load_b32 v8, v8 offset:4
	s_wait_dscnt 0x0
	global_store_b32 v[22:23], v8, off offset:16
.LBB1_368:                              ;   in Loop: Header=BB1_6 Depth=2
	s_wait_xcnt 0x0
	s_or_b32 exec_lo, exec_lo, s30
	v_mov_b32_e32 v8, v39
	s_and_not1_b32 s30, s25, exec_lo
	s_and_b32 s29, s29, exec_lo
	s_and_not1_b32 s28, s28, exec_lo
	s_and_b32 s31, s27, exec_lo
	s_or_b32 s27, s30, s29
	s_or_b32 s28, s28, s31
	s_or_b32 exec_lo, exec_lo, s0
	v_bfrev_b32_e32 v42, 24
	s_and_saveexec_b32 s29, s28
	s_cbranch_execnz .LBB1_340
	s_branch .LBB1_341
.LBB1_369:                              ;   in Loop: Header=BB1_6 Depth=2
	s_or_b32 exec_lo, exec_lo, s3
.LBB1_370:                              ;   in Loop: Header=BB1_6 Depth=2
	s_delay_alu instid0(SALU_CYCLE_1)
	s_or_b32 exec_lo, exec_lo, s2
	v_add_nc_u32_e32 v0, -1, v0
.LBB1_371:                              ;   in Loop: Header=BB1_6 Depth=2
	s_or_b32 exec_lo, exec_lo, s1
	v_and_b32_e32 v7, 2, v5
	s_mov_b32 s1, exec_lo
	s_delay_alu instid0(VALU_DEP_1)
	v_cmpx_ne_u32_e32 0, v7
	s_cbranch_execz .LBB1_375
; %bb.372:                              ;   in Loop: Header=BB1_6 Depth=2
	s_mov_b32 s2, exec_lo
	v_cmpx_gt_i32_e32 1, v0
	s_cbranch_execz .LBB1_374
; %bb.373:                              ;   in Loop: Header=BB1_6 Depth=2
	v_cmp_eq_u32_e64 s0, 0, v0
	s_delay_alu instid0(VALU_DEP_1) | instskip(NEXT) | instid1(VALU_DEP_1)
	v_cndmask_b32_e64 v6, 0, v6, s0
	v_dual_lshlrev_b32 v7, 1, v6 :: v_dual_lshrrev_b32 v26, 1, v6
	v_and_b32_e32 v6, 0x99999999, v6
	s_delay_alu instid0(VALU_DEP_2) | instskip(NEXT) | instid1(VALU_DEP_3)
	v_and_b32_e32 v7, 0x44444444, v7
	v_and_b32_e32 v26, 0x22222222, v26
	s_delay_alu instid0(VALU_DEP_1)
	v_or3_b32 v6, v7, v6, v26
.LBB1_374:                              ;   in Loop: Header=BB1_6 Depth=2
	s_or_b32 exec_lo, exec_lo, s2
	v_add_nc_u32_e32 v0, -1, v0
.LBB1_375:                              ;   in Loop: Header=BB1_6 Depth=2
	s_or_b32 exec_lo, exec_lo, s1
	v_dual_mov_b32 v46, v1 :: v_dual_mov_b32 v47, v2
	v_dual_mov_b32 v48, v3 :: v_dual_mov_b32 v49, v24
	v_mov_b32_e32 v1, 0
	s_clause 0x5
	scratch_store_b128 off, v[46:49], off offset:88
	scratch_store_b32 off, v25, off offset:104
	scratch_store_b8 off, v28, off offset:108
	scratch_store_b128 off, v[8:11], off offset:116
	scratch_store_b32 off, v41, off offset:132
	scratch_store_b8 off, v44, off offset:136
	s_wait_xcnt 0x0
	s_and_saveexec_b32 s2, vcc_lo
	s_cbranch_execz .LBB1_383
; %bb.376:                              ;   in Loop: Header=BB1_6 Depth=2
	v_cmp_ne_u32_e64 s0, 0, v39
	v_mov_b32_e32 v1, 0
	s_mov_b32 s3, 0
	s_mov_b32 s25, 0
	s_branch .LBB1_378
.LBB1_377:                              ;   in Loop: Header=BB1_378 Depth=3
	s_or_b32 exec_lo, exec_lo, s26
	s_add_co_i32 s25, s25, 1
	s_delay_alu instid0(SALU_CYCLE_1) | instskip(SKIP_1) | instid1(SALU_CYCLE_1)
	v_cmp_eq_u32_e64 s1, s25, v42
	s_or_b32 s3, s1, s3
	s_and_not1_b32 exec_lo, exec_lo, s3
	s_cbranch_execz .LBB1_382
.LBB1_378:                              ;   Parent Loop BB1_3 Depth=1
                                        ;     Parent Loop BB1_6 Depth=2
                                        ; =>    This Loop Header: Depth=3
                                        ;         Child Loop BB1_380 Depth 4
	s_and_saveexec_b32 s26, s0
	s_cbranch_execz .LBB1_377
; %bb.379:                              ;   in Loop: Header=BB1_378 Depth=3
	s_lshl_b32 s1, s25, 2
	v_mov_b32_e32 v3, v39
	s_addk_co_i32 s1, 0x70
	s_lshl_b32 s28, 1, s25
	scratch_load_b32 v2, off, s1 offset:4
	s_mov_b32 s27, 0
	s_mov_b32 s29, s5
.LBB1_380:                              ;   Parent Loop BB1_3 Depth=1
                                        ;     Parent Loop BB1_6 Depth=2
                                        ;       Parent Loop BB1_378 Depth=3
                                        ; =>      This Inner Loop Header: Depth=4
	scratch_load_b32 v7, off, s29
	s_wait_xcnt 0x0
	s_add_co_i32 s29, s29, 4
	s_wait_loadcnt 0x0
	v_cmp_eq_u32_e64 s1, v7, v2
	s_delay_alu instid0(VALU_DEP_1) | instskip(NEXT) | instid1(VALU_DEP_1)
	v_cndmask_b32_e64 v7, 0, s28, s1
	v_dual_add_nc_u32 v3, -1, v3 :: v_dual_bitop2_b32 v1, v7, v1 bitop3:0x54
	s_delay_alu instid0(VALU_DEP_1) | instskip(SKIP_1) | instid1(SALU_CYCLE_1)
	v_cmp_eq_u32_e64 s1, 0, v3
	s_or_b32 s27, s1, s27
	s_and_not1_b32 exec_lo, exec_lo, s27
	s_cbranch_execnz .LBB1_380
; %bb.381:                              ;   in Loop: Header=BB1_378 Depth=3
	s_or_b32 exec_lo, exec_lo, s27
	s_branch .LBB1_377
.LBB1_382:                              ;   in Loop: Header=BB1_6 Depth=2
	s_or_b32 exec_lo, exec_lo, s3
.LBB1_383:                              ;   in Loop: Header=BB1_6 Depth=2
	s_delay_alu instid0(SALU_CYCLE_1)
	s_or_b32 exec_lo, exec_lo, s2
	s_wait_loadcnt 0x0
	v_cmp_ne_u32_e64 s0, 0, v43
	v_dual_add_nc_u32 v2, -1, v39 :: v_dual_bitop2_b32 v7, 8, v1 bitop3:0x40
	s_mov_b32 s1, exec_lo
	v_cndmask_b32_e64 v3, 0, -1, s0
	s_delay_alu instid0(VALU_DEP_1) | instskip(NEXT) | instid1(VALU_DEP_3)
	v_xor_b32_e32 v3, v25, v3
	v_cmpx_ne_u32_e32 0, v7
	s_cbranch_execz .LBB1_399
; %bb.384:                              ;   in Loop: Header=BB1_6 Depth=2
	s_mov_b32 s2, exec_lo
	v_cmpx_gt_u32_e32 4, v39
	s_cbranch_execz .LBB1_398
; %bb.385:                              ;   in Loop: Header=BB1_6 Depth=2
	s_mov_b32 s3, 0
	s_branch .LBB1_388
.LBB1_386:                              ;   in Loop: Header=BB1_388 Depth=3
	s_or_b32 exec_lo, exec_lo, s26
.LBB1_387:                              ;   in Loop: Header=BB1_388 Depth=3
	s_delay_alu instid0(SALU_CYCLE_1) | instskip(SKIP_1) | instid1(VALU_DEP_1)
	s_or_b32 exec_lo, exec_lo, s25
	v_add_nc_u32_e32 v2, 1, v2
	v_cmp_lt_u32_e64 s0, 2, v2
	s_or_b32 s3, s0, s3
	s_delay_alu instid0(SALU_CYCLE_1)
	s_and_not1_b32 exec_lo, exec_lo, s3
	s_cbranch_execz .LBB1_397
.LBB1_388:                              ;   Parent Loop BB1_3 Depth=1
                                        ;     Parent Loop BB1_6 Depth=2
                                        ; =>    This Inner Loop Header: Depth=3
	v_mov_b32_e32 v7, v3
	s_mov_b32 s25, exec_lo
	v_cmpx_lt_i32_e32 0, v2
	s_xor_b32 s25, exec_lo, s25
	s_cbranch_execz .LBB1_394
; %bb.389:                              ;   in Loop: Header=BB1_388 Depth=3
	v_cmp_lt_i32_e64 s0, 1, v2
	s_and_saveexec_b32 s26, s0
	s_delay_alu instid0(SALU_CYCLE_1)
	s_xor_b32 s0, exec_lo, s26
; %bb.390:                              ;   in Loop: Header=BB1_388 Depth=3
	v_dual_lshlrev_b32 v7, 4, v3 :: v_dual_lshrrev_b32 v8, 4, v3
	v_and_b32_e32 v3, 0xf00ff00f, v3
	s_delay_alu instid0(VALU_DEP_2) | instskip(NEXT) | instid1(VALU_DEP_3)
	v_and_b32_e32 v7, 0xf000f00, v7
	v_and_b32_e32 v8, 0xf000f0, v8
	s_delay_alu instid0(VALU_DEP_1)
	v_or3_b32 v3, v7, v3, v8
; %bb.391:                              ;   in Loop: Header=BB1_388 Depth=3
	s_and_not1_saveexec_b32 s0, s0
; %bb.392:                              ;   in Loop: Header=BB1_388 Depth=3
	s_delay_alu instid0(VALU_DEP_1) | instskip(SKIP_1) | instid1(VALU_DEP_2)
	v_dual_lshlrev_b32 v7, 2, v3 :: v_dual_lshrrev_b32 v8, 2, v3
	v_and_b32_e32 v3, 0xc3c3c3c3, v3
	v_and_b32_e32 v7, 0x30303030, v7
	s_delay_alu instid0(VALU_DEP_3) | instskip(NEXT) | instid1(VALU_DEP_1)
	v_and_b32_e32 v8, 0xc0c0c0c, v8
	v_or3_b32 v3, v7, v3, v8
; %bb.393:                              ;   in Loop: Header=BB1_388 Depth=3
	s_or_b32 exec_lo, exec_lo, s0
                                        ; implicit-def: $vgpr7
.LBB1_394:                              ;   in Loop: Header=BB1_388 Depth=3
	s_and_not1_saveexec_b32 s25, s25
	s_cbranch_execz .LBB1_387
; %bb.395:                              ;   in Loop: Header=BB1_388 Depth=3
	v_mov_b32_e32 v3, 0
	s_mov_b32 s26, exec_lo
	v_cmpx_eq_u32_e32 0, v2
	s_cbranch_execz .LBB1_386
; %bb.396:                              ;   in Loop: Header=BB1_388 Depth=3
	v_dual_lshlrev_b32 v3, 1, v7 :: v_dual_lshrrev_b32 v8, 1, v7
	v_and_b32_e32 v7, 0x99999999, v7
	s_delay_alu instid0(VALU_DEP_2) | instskip(NEXT) | instid1(VALU_DEP_3)
	v_and_b32_e32 v3, 0x44444444, v3
	v_and_b32_e32 v8, 0x22222222, v8
	s_delay_alu instid0(VALU_DEP_1)
	v_or3_b32 v3, v3, v7, v8
	s_branch .LBB1_386
.LBB1_397:                              ;   in Loop: Header=BB1_6 Depth=2
	s_or_b32 exec_lo, exec_lo, s3
.LBB1_398:                              ;   in Loop: Header=BB1_6 Depth=2
	s_delay_alu instid0(SALU_CYCLE_1)
	s_or_b32 exec_lo, exec_lo, s2
	v_add_nc_u32_e32 v2, -2, v39
.LBB1_399:                              ;   in Loop: Header=BB1_6 Depth=2
	s_or_b32 exec_lo, exec_lo, s1
	v_and_b32_e32 v7, 4, v1
	s_mov_b32 s1, exec_lo
	s_delay_alu instid0(VALU_DEP_1)
	v_cmpx_ne_u32_e32 0, v7
	s_cbranch_execz .LBB1_411
; %bb.400:                              ;   in Loop: Header=BB1_6 Depth=2
	s_mov_b32 s2, exec_lo
	v_cmpx_gt_i32_e32 2, v2
	s_cbranch_execz .LBB1_410
; %bb.401:                              ;   in Loop: Header=BB1_6 Depth=2
	v_mov_b32_e32 v7, v2
	s_mov_b32 s3, 0
	s_branch .LBB1_404
.LBB1_402:                              ;   in Loop: Header=BB1_404 Depth=3
	s_or_b32 exec_lo, exec_lo, s26
.LBB1_403:                              ;   in Loop: Header=BB1_404 Depth=3
	s_delay_alu instid0(SALU_CYCLE_1) | instskip(SKIP_2) | instid1(VALU_DEP_2)
	s_or_b32 exec_lo, exec_lo, s25
	v_add_nc_u32_e32 v8, 1, v7
	v_cmp_lt_i32_e64 s0, 0, v7
	v_mov_b32_e32 v7, v8
	s_or_b32 s3, s0, s3
	s_delay_alu instid0(SALU_CYCLE_1)
	s_and_not1_b32 exec_lo, exec_lo, s3
	s_cbranch_execz .LBB1_409
.LBB1_404:                              ;   Parent Loop BB1_3 Depth=1
                                        ;     Parent Loop BB1_6 Depth=2
                                        ; =>    This Inner Loop Header: Depth=3
	s_delay_alu instid0(VALU_DEP_1) | instskip(SKIP_2) | instid1(SALU_CYCLE_1)
	v_cmp_lt_i32_e64 s0, 0, v7
	v_mov_b32_e32 v8, v3
	s_and_saveexec_b32 s25, s0
	s_xor_b32 s0, exec_lo, s25
; %bb.405:                              ;   in Loop: Header=BB1_404 Depth=3
	v_dual_lshlrev_b32 v8, 2, v3 :: v_dual_lshrrev_b32 v9, 2, v3
	v_and_b32_e32 v3, 0xc3c3c3c3, v3
	s_delay_alu instid0(VALU_DEP_2) | instskip(NEXT) | instid1(VALU_DEP_3)
	v_and_b32_e32 v8, 0x30303030, v8
	v_and_b32_e32 v9, 0xc0c0c0c, v9
	s_delay_alu instid0(VALU_DEP_1)
	v_or3_b32 v3, v8, v3, v9
                                        ; implicit-def: $vgpr8
; %bb.406:                              ;   in Loop: Header=BB1_404 Depth=3
	s_and_not1_saveexec_b32 s25, s0
	s_cbranch_execz .LBB1_403
; %bb.407:                              ;   in Loop: Header=BB1_404 Depth=3
	v_mov_b32_e32 v3, 0
	s_mov_b32 s26, exec_lo
	v_cmpx_eq_u32_e32 0, v7
	s_cbranch_execz .LBB1_402
; %bb.408:                              ;   in Loop: Header=BB1_404 Depth=3
	v_dual_lshlrev_b32 v3, 1, v8 :: v_dual_lshrrev_b32 v9, 1, v8
	v_and_b32_e32 v8, 0x99999999, v8
	s_delay_alu instid0(VALU_DEP_2) | instskip(NEXT) | instid1(VALU_DEP_3)
	v_and_b32_e32 v3, 0x44444444, v3
	v_and_b32_e32 v9, 0x22222222, v9
	s_delay_alu instid0(VALU_DEP_1)
	v_or3_b32 v3, v3, v8, v9
	s_branch .LBB1_402
.LBB1_409:                              ;   in Loop: Header=BB1_6 Depth=2
	s_or_b32 exec_lo, exec_lo, s3
.LBB1_410:                              ;   in Loop: Header=BB1_6 Depth=2
	s_delay_alu instid0(SALU_CYCLE_1)
	s_or_b32 exec_lo, exec_lo, s2
	v_add_nc_u32_e32 v2, -1, v2
.LBB1_411:                              ;   in Loop: Header=BB1_6 Depth=2
	s_or_b32 exec_lo, exec_lo, s1
	v_and_b32_e32 v7, 2, v1
	s_mov_b32 s1, exec_lo
	s_delay_alu instid0(VALU_DEP_1)
	v_cmpx_ne_u32_e32 0, v7
	s_cbranch_execz .LBB1_415
; %bb.412:                              ;   in Loop: Header=BB1_6 Depth=2
	s_mov_b32 s2, exec_lo
	v_cmpx_gt_i32_e32 1, v2
	s_cbranch_execz .LBB1_414
; %bb.413:                              ;   in Loop: Header=BB1_6 Depth=2
	v_cmp_eq_u32_e64 s0, 0, v2
	s_delay_alu instid0(VALU_DEP_1) | instskip(NEXT) | instid1(VALU_DEP_1)
	v_cndmask_b32_e64 v3, 0, v3, s0
	v_dual_lshlrev_b32 v7, 1, v3 :: v_dual_lshrrev_b32 v8, 1, v3
	v_and_b32_e32 v3, 0x99999999, v3
	s_delay_alu instid0(VALU_DEP_2) | instskip(NEXT) | instid1(VALU_DEP_3)
	v_and_b32_e32 v7, 0x44444444, v7
	v_and_b32_e32 v8, 0x22222222, v8
	s_delay_alu instid0(VALU_DEP_1)
	v_or3_b32 v3, v7, v3, v8
.LBB1_414:                              ;   in Loop: Header=BB1_6 Depth=2
	s_or_b32 exec_lo, exec_lo, s2
	v_add_nc_u32_e32 v2, -1, v2
.LBB1_415:                              ;   in Loop: Header=BB1_6 Depth=2
	s_or_b32 exec_lo, exec_lo, s1
	v_and_b32_e32 v5, 1, v5
	v_and_b32_e32 v1, 1, v1
	v_cmp_gt_i32_e64 s0, 0, v0
	v_cmp_gt_i32_e64 s2, 0, v2
	s_delay_alu instid0(VALU_DEP_4) | instskip(SKIP_3) | instid1(SALU_CYCLE_1)
	v_cmp_eq_u32_e64 s1, 1, v5
	v_mov_b32_e32 v5, 0
	v_cmp_eq_u32_e64 s3, 1, v1
	s_and_b32 s0, s1, s0
	v_cndmask_b32_e64 v0, v6, 0, s0
	s_and_b32 s0, s3, s2
	v_mov_b32_e32 v6, 0
	v_cndmask_b32_e64 v1, v3, 0, s0
	s_delay_alu instid0(VALU_DEP_1) | instskip(SKIP_1) | instid1(VALU_DEP_2)
	v_and_b32_e32 v3, v1, v0
	v_bitop3_b32 v0, v1, 0xffff, v0 bitop3:0x80
	v_bfi_b32 v2, 0xffff, v3, v41
	global_store_b32 v[22:23], v2, off offset:20
	s_wait_xcnt 0x0
	s_and_saveexec_b32 s1, vcc_lo
	s_cbranch_execz .LBB1_419
; %bb.416:                              ;   in Loop: Header=BB1_6 Depth=2
	v_dual_mov_b32 v1, v0 :: v_dual_mov_b32 v6, 0
	v_mov_b32_e32 v5, v42
	s_mov_b32 s25, 0
	s_mov_b32 s26, 0
	s_get_pc_i64 s[2:3]
	s_add_nc_u64 s[2:3], s[2:3], __const._Z18MinimizeCutSupportPN2rw3CutE.masks@rel64+4
.LBB1_417:                              ;   Parent Loop BB1_3 Depth=1
                                        ;     Parent Loop BB1_6 Depth=2
                                        ; =>    This Inner Loop Header: Depth=3
	s_load_b64 s[28:29], s[2:3], 0x0
	s_lshl_b32 s0, 1, s26
	s_add_co_i32 s26, s26, 1
	s_wait_xcnt 0x0
	s_add_nc_u64 s[2:3], s[2:3], 8
	s_wait_kmcnt 0x0
	v_and_b32_e32 v7, s29, v1
	s_delay_alu instid0(VALU_DEP_1) | instskip(NEXT) | instid1(VALU_DEP_1)
	v_dual_lshrrev_b32 v7, s0, v7 :: v_dual_bitop2_b32 v8, s28, v0 bitop3:0x40
	v_cmp_eq_u32_e32 vcc_lo, v8, v7
	v_cndmask_b32_e64 v7, s0, 0, vcc_lo
	v_cmp_eq_u32_e64 s0, s26, v42
	v_subrev_co_ci_u32_e64 v5, null, 0, v5, vcc_lo
	s_delay_alu instid0(VALU_DEP_3) | instskip(NEXT) | instid1(VALU_DEP_3)
	v_or_b32_e32 v6, v7, v6
	s_or_b32 s25, s0, s25
	s_delay_alu instid0(SALU_CYCLE_1)
	s_and_not1_b32 exec_lo, exec_lo, s25
	s_cbranch_execnz .LBB1_417
; %bb.418:                              ;   in Loop: Header=BB1_6 Depth=2
	s_or_b32 exec_lo, exec_lo, s25
.LBB1_419:                              ;   in Loop: Header=BB1_6 Depth=2
	s_delay_alu instid0(SALU_CYCLE_1)
	s_or_b32 exec_lo, exec_lo, s1
	v_and_b32_e32 v1, 0xffff0000, v41
	s_mov_b32 s3, exec_lo
	v_cmpx_ne_u32_e64 v5, v42
	s_cbranch_execz .LBB1_487
; %bb.420:                              ;   in Loop: Header=BB1_6 Depth=2
	v_and_b32_e32 v7, 2, v6
	v_and_b32_e32 v2, 1, v6
	s_mov_b32 s0, exec_lo
	s_delay_alu instid0(VALU_DEP_2)
	v_cmpx_ne_u32_e32 0, v7
	s_cbranch_execz .LBB1_422
; %bb.421:                              ;   in Loop: Header=BB1_6 Depth=2
	v_dual_lshlrev_b32 v7, 1, v0 :: v_dual_lshrrev_b32 v8, 1, v3
	v_and_b32_e32 v3, 0x9999, v3
	v_cmp_eq_u32_e32 vcc_lo, 0, v2
	v_add_nc_u32_e32 v2, 1, v2
	s_delay_alu instid0(VALU_DEP_4) | instskip(SKIP_1) | instid1(VALU_DEP_1)
	v_and_b32_e32 v7, 0x4444, v7
	v_and_b32_e32 v8, 0x2222, v8
	v_or3_b32 v3, v8, v3, v7
	s_delay_alu instid0(VALU_DEP_1)
	v_cndmask_b32_e32 v0, v0, v3, vcc_lo
.LBB1_422:                              ;   in Loop: Header=BB1_6 Depth=2
	s_or_b32 exec_lo, exec_lo, s0
	v_and_b32_e32 v3, 4, v6
	s_mov_b32 s0, exec_lo
	s_delay_alu instid0(VALU_DEP_1)
	v_cmpx_ne_u32_e32 0, v3
	s_cbranch_execz .LBB1_426
; %bb.423:                              ;   in Loop: Header=BB1_6 Depth=2
	s_mov_b32 s1, exec_lo
	v_cmpx_gt_u32_e32 2, v2
	s_cbranch_execz .LBB1_425
; %bb.424:                              ;   in Loop: Header=BB1_6 Depth=2
	v_and_b32_e32 v3, 0xc3c3, v0
	v_dual_lshlrev_b32 v7, 2, v0 :: v_dual_lshrrev_b32 v0, 2, v0
	v_cmp_eq_u32_e32 vcc_lo, 0, v2
	s_delay_alu instid0(VALU_DEP_2) | instskip(NEXT) | instid1(VALU_DEP_3)
	v_and_or_b32 v3, 0x3030, v7, v3
	v_and_b32_e32 v0, 0xc0c, v0
	s_delay_alu instid0(VALU_DEP_1) | instskip(SKIP_1) | instid1(VALU_DEP_2)
	v_dual_lshlrev_b32 v8, 1, v3 :: v_dual_bitop2_b32 v7, v3, v0 bitop3:0x54
	v_bitop3_b32 v0, v3, 0x9999, v0 bitop3:0xc8
	v_and_b32_e32 v8, 0x4444, v8
	s_delay_alu instid0(VALU_DEP_3) | instskip(NEXT) | instid1(VALU_DEP_1)
	v_lshrrev_b32_e32 v9, 1, v7
	v_and_b32_e32 v3, 0x2222, v9
	s_delay_alu instid0(VALU_DEP_1) | instskip(NEXT) | instid1(VALU_DEP_1)
	v_or3_b32 v0, v8, v0, v3
	v_cndmask_b32_e32 v0, v7, v0, vcc_lo
.LBB1_425:                              ;   in Loop: Header=BB1_6 Depth=2
	s_or_b32 exec_lo, exec_lo, s1
	v_add_nc_u32_e32 v2, 1, v2
.LBB1_426:                              ;   in Loop: Header=BB1_6 Depth=2
	s_or_b32 exec_lo, exec_lo, s0
	v_and_b32_e32 v3, 8, v6
	s_delay_alu instid0(VALU_DEP_2) | instskip(NEXT) | instid1(VALU_DEP_2)
	v_cmp_gt_u32_e64 s0, 3, v2
	v_cmp_ne_u32_e32 vcc_lo, 0, v3
	s_and_b32 s1, vcc_lo, s0
	s_delay_alu instid0(SALU_CYCLE_1)
	s_and_saveexec_b32 s0, s1
	s_cbranch_execz .LBB1_437
; %bb.427:                              ;   in Loop: Header=BB1_6 Depth=2
	s_mov_b32 s2, 3
	s_mov_b32 s1, 0
	s_branch .LBB1_430
.LBB1_428:                              ;   in Loop: Header=BB1_430 Depth=3
	s_mov_b32 s26, 0xf000f0
	s_mov_b32 s28, 0xf000f00
	;; [unrolled: 1-line block ×4, first 2 shown]
.LBB1_429:                              ;   in Loop: Header=BB1_430 Depth=3
	v_dual_lshlrev_b32 v3, s25, v0 :: v_dual_lshrrev_b32 v7, s25, v0
	v_and_b32_e32 v0, s27, v0
	s_add_co_i32 s2, s2, -1
	s_delay_alu instid0(SALU_CYCLE_1) | instskip(NEXT) | instid1(VALU_DEP_3)
	v_cmp_le_u32_e32 vcc_lo, s2, v2
	v_and_b32_e32 v3, s28, v3
	v_and_b32_e32 v7, s26, v7
	s_or_b32 s1, vcc_lo, s1
	s_delay_alu instid0(VALU_DEP_1)
	v_or3_b32 v0, v3, v0, v7
	s_and_not1_b32 exec_lo, exec_lo, s1
	s_cbranch_execz .LBB1_436
.LBB1_430:                              ;   Parent Loop BB1_3 Depth=1
                                        ;     Parent Loop BB1_6 Depth=2
                                        ; =>    This Inner Loop Header: Depth=3
	s_cmp_gt_i32 s2, 2
	s_cbranch_scc1 .LBB1_428
; %bb.431:                              ;   in Loop: Header=BB1_430 Depth=3
	s_cmp_lg_u32 s2, 2
	s_mov_b32 s25, -1
	s_cbranch_scc0 .LBB1_433
; %bb.432:                              ;   in Loop: Header=BB1_430 Depth=3
	s_mov_b32 s25, 0
.LBB1_433:                              ;   in Loop: Header=BB1_430 Depth=3
	s_delay_alu instid0(SALU_CYCLE_1)
	s_and_not1_b32 vcc_lo, exec_lo, s25
	s_mov_b32 s25, 1
	s_cbranch_vccnz .LBB1_435
; %bb.434:                              ;   in Loop: Header=BB1_430 Depth=3
	s_mov_b32 s27, 0xc3c3c3c3
	s_mov_b32 s25, 2
	;; [unrolled: 1-line block ×4, first 2 shown]
	s_branch .LBB1_429
.LBB1_435:                              ;   in Loop: Header=BB1_430 Depth=3
	s_mov_b32 s27, 0x99999999
	s_mov_b32 s28, 0x44444444
	;; [unrolled: 1-line block ×3, first 2 shown]
	s_branch .LBB1_429
.LBB1_436:                              ;   in Loop: Header=BB1_6 Depth=2
	s_or_b32 exec_lo, exec_lo, s1
.LBB1_437:                              ;   in Loop: Header=BB1_6 Depth=2
	s_delay_alu instid0(SALU_CYCLE_1)
	s_or_b32 exec_lo, exec_lo, s0
	v_and_b32_e32 v2, 0x78000000, v41
	v_and_or_b32 v7, 0xffff, v0, v1
	v_mov_b32_e32 v3, 0
	s_mov_b32 s0, exec_lo
	s_clause 0x1
	global_store_b32 v[22:23], v7, off offset:20
	global_store_b32 v[22:23], v3, off
	s_wait_xcnt 0x0
	v_cmpx_ne_u32_e32 0, v2
	s_cbranch_execz .LBB1_443
; %bb.438:                              ;   in Loop: Header=BB1_6 Depth=2
	v_mad_nc_i64_i32 v[0:1], v4, 28, v[18:19]
	v_dual_mov_b32 v3, 0 :: v_dual_mov_b32 v2, 0
	s_mov_b32 s1, 0
	s_mov_b32 s2, 0
	s_branch .LBB1_440
.LBB1_439:                              ;   in Loop: Header=BB1_440 Depth=3
	s_wait_xcnt 0x0
	s_or_b32 exec_lo, exec_lo, s25
	s_wait_loadcnt 0x0
	v_bfe_u32 v8, v7, 27, 4
	s_add_co_i32 s2, s2, 1
	v_add_nc_u64_e32 v[0:1], 4, v[0:1]
	s_delay_alu instid0(VALU_DEP_2) | instskip(SKIP_1) | instid1(SALU_CYCLE_1)
	v_cmp_ge_u32_e32 vcc_lo, s2, v8
	s_or_b32 s1, vcc_lo, s1
	s_and_not1_b32 exec_lo, exec_lo, s1
	s_cbranch_execz .LBB1_442
.LBB1_440:                              ;   Parent Loop BB1_3 Depth=1
                                        ;     Parent Loop BB1_6 Depth=2
                                        ; =>    This Inner Loop Header: Depth=3
	v_lshrrev_b32_e32 v8, s2, v6
	s_mov_b32 s25, exec_lo
	s_delay_alu instid0(VALU_DEP_1) | instskip(NEXT) | instid1(VALU_DEP_1)
	v_and_b32_e32 v8, 1, v8
	v_cmpx_eq_u32_e32 1, v8
	s_cbranch_execz .LBB1_439
; %bb.441:                              ;   in Loop: Header=BB1_440 Depth=3
	global_load_b32 v10, v[0:1], off
	v_ashrrev_i32_e32 v3, 31, v2
	s_delay_alu instid0(VALU_DEP_1)
	v_lshl_add_u64 v[8:9], v[2:3], 2, v[22:23]
	v_add_nc_u32_e32 v2, 1, v2
	s_wait_loadcnt 0x0
	s_clause 0x2
	global_store_b32 v[8:9], v10, off offset:4
	global_load_b32 v3, v[22:23], off
	global_load_b32 v7, v[22:23], off offset:20
	s_wait_loadcnt 0x1
	v_lshl_or_b32 v3, 1, v10, v3
	global_store_b32 v[22:23], v3, off
	s_branch .LBB1_439
.LBB1_442:                              ;   in Loop: Header=BB1_6 Depth=2
	s_or_b32 exec_lo, exec_lo, s1
.LBB1_443:                              ;   in Loop: Header=BB1_6 Depth=2
	s_delay_alu instid0(SALU_CYCLE_1) | instskip(SKIP_3) | instid1(VALU_DEP_1)
	s_or_b32 exec_lo, exec_lo, s0
	v_dual_lshlrev_b32 v0, 27, v5 :: v_dual_bitop2_b32 v5, 15, v5 bitop3:0x40
	s_mov_b32 s25, 0
	s_mov_b32 s26, 0
                                        ; implicit-def: $sgpr27
                                        ; implicit-def: $sgpr28
	v_bfi_b32 v2, 0x87ffffff, v7, v0
	s_delay_alu instid0(VALU_DEP_2)
	v_cmp_ne_u32_e32 vcc_lo, 0, v5
	global_store_b32 v[22:23], v2, off offset:20
	s_branch .LBB1_445
.LBB1_444:                              ;   in Loop: Header=BB1_445 Depth=3
	s_or_b32 exec_lo, exec_lo, s2
	s_delay_alu instid0(SALU_CYCLE_1) | instskip(NEXT) | instid1(SALU_CYCLE_1)
	s_and_b32 s0, exec_lo, s1
	s_or_b32 s25, s0, s25
	s_and_not1_b32 s0, s27, exec_lo
	s_and_b32 s1, s28, exec_lo
	s_delay_alu instid0(SALU_CYCLE_1)
	s_or_b32 s27, s0, s1
	s_and_not1_b32 exec_lo, exec_lo, s25
	s_cbranch_execz .LBB1_484
.LBB1_445:                              ;   Parent Loop BB1_3 Depth=1
                                        ;     Parent Loop BB1_6 Depth=2
                                        ; =>    This Loop Header: Depth=3
                                        ;         Child Loop BB1_453 Depth 4
                                        ;           Child Loop BB1_454 Depth 5
                                        ;         Child Loop BB1_469 Depth 4
                                        ;           Child Loop BB1_470 Depth 5
	v_cmp_eq_u32_e64 s0, s26, v4
	s_mov_b32 s29, exec_lo
	s_wait_xcnt 0x0
	v_cmpx_ne_u32_e64 s26, v4
	s_cbranch_execz .LBB1_482
; %bb.446:                              ;   in Loop: Header=BB1_445 Depth=3
	v_mad_nc_u64_u32 v[0:1], s26, 28, v[12:13]
	s_mov_b32 s2, -1
	s_mov_b32 s30, exec_lo
	global_load_u8 v6, v[0:1], off offset:24
	s_wait_loadcnt 0x0
	v_and_b32_e32 v6, 1, v6
	s_wait_xcnt 0x0
	s_delay_alu instid0(VALU_DEP_1)
	v_cmpx_eq_u32_e32 1, v6
	s_cbranch_execz .LBB1_481
; %bb.447:                              ;   in Loop: Header=BB1_445 Depth=3
	s_clause 0x1
	global_load_b32 v7, v[0:1], off offset:20
	global_load_b32 v9, v[0:1], off
	s_mov_b32 s31, 0
	s_mov_b32 s2, exec_lo
	s_wait_loadcnt 0x1
	v_bfe_u32 v6, v7, 27, 4
	s_wait_loadcnt 0x0
	v_and_b32_e32 v8, v3, v9
	s_wait_xcnt 0x0
	s_delay_alu instid0(VALU_DEP_2)
	v_cmpx_le_u32_e64 v6, v5
	s_xor_b32 s33, exec_lo, s2
	s_cbranch_execz .LBB1_463
; %bb.448:                              ;   in Loop: Header=BB1_445 Depth=3
	s_mov_b32 s2, -1
	s_mov_b32 s31, exec_lo
	v_cmpx_eq_u32_e64 v8, v9
	s_cbranch_execz .LBB1_462
; %bb.449:                              ;   in Loop: Header=BB1_445 Depth=3
	s_clause 0x2
	global_load_b128 v[8:11], v[22:23], off
	global_load_b128 v[24:27], v[22:23], off offset:12
	global_load_b128 v[40:43], v[0:1], off offset:4
	s_mov_b32 s2, 0
	s_mov_b32 s34, exec_lo
	s_wait_loadcnt 0x2
	scratch_store_b128 off, v[8:11], off offset:28
	s_wait_loadcnt 0x1
	scratch_store_b128 off, v[24:27], off offset:40
	s_wait_loadcnt 0x0
	s_clause 0x2
	scratch_store_b128 off, v[40:43], off offset:4
	scratch_store_b32 off, v7, off offset:20
	scratch_store_b8 off, v28, off offset:24
	s_wait_xcnt 0x0
	v_cmpx_ne_u32_e32 0, v6
	s_cbranch_execz .LBB1_461
; %bb.450:                              ;   in Loop: Header=BB1_445 Depth=3
	scratch_load_b32 v0, off, off offset:48
	s_mov_b32 s2, -1
	s_mov_b32 s35, exec_lo
	s_wait_loadcnt 0x0
	v_bfe_u32 v0, v0, 27, 4
	s_wait_xcnt 0x0
	s_delay_alu instid0(VALU_DEP_1)
	v_cmpx_ne_u32_e32 0, v0
	s_cbranch_execz .LBB1_458
; %bb.451:                              ;   in Loop: Header=BB1_445 Depth=3
	s_mov_b32 s36, 0
	s_mov_b32 s37, 0
                                        ; implicit-def: $sgpr38
                                        ; implicit-def: $sgpr39
	s_branch .LBB1_453
.LBB1_452:                              ;   in Loop: Header=BB1_453 Depth=4
	s_or_b32 exec_lo, exec_lo, s40
	s_delay_alu instid0(SALU_CYCLE_1) | instskip(NEXT) | instid1(SALU_CYCLE_1)
	s_and_b32 s1, exec_lo, s2
	s_or_b32 s36, s1, s36
	s_and_not1_b32 s1, s38, exec_lo
	s_and_b32 s2, s39, exec_lo
	s_delay_alu instid0(SALU_CYCLE_1)
	s_or_b32 s38, s1, s2
	s_and_not1_b32 exec_lo, exec_lo, s36
	s_cbranch_execz .LBB1_457
.LBB1_453:                              ;   Parent Loop BB1_3 Depth=1
                                        ;     Parent Loop BB1_6 Depth=2
                                        ;       Parent Loop BB1_445 Depth=3
                                        ; =>      This Loop Header: Depth=4
                                        ;           Child Loop BB1_454 Depth 5
	s_lshl_b32 s1, s37, 2
	v_dual_mov_b32 v1, 0 :: v_dual_mov_b32 v8, v0
	scratch_load_b32 v7, off, s1 offset:4
	s_mov_b32 s40, 0
	s_mov_b32 s41, s8
.LBB1_454:                              ;   Parent Loop BB1_3 Depth=1
                                        ;     Parent Loop BB1_6 Depth=2
                                        ;       Parent Loop BB1_445 Depth=3
                                        ;         Parent Loop BB1_453 Depth=4
                                        ; =>        This Inner Loop Header: Depth=5
	scratch_load_b32 v9, off, s41
	s_wait_xcnt 0x0
	s_add_co_i32 s41, s41, 4
	s_wait_loadcnt 0x0
	v_cmp_ne_u32_e64 s2, v9, v7
	s_delay_alu instid0(VALU_DEP_1) | instskip(NEXT) | instid1(VALU_DEP_1)
	v_dual_add_nc_u32 v8, -1, v8 :: v_dual_cndmask_b32 v1, 1, v1, s2
	v_cmp_eq_u32_e64 s1, 0, v8
	s_or_b32 s40, s1, s40
	s_delay_alu instid0(SALU_CYCLE_1)
	s_and_not1_b32 exec_lo, exec_lo, s40
	s_cbranch_execnz .LBB1_454
; %bb.455:                              ;   in Loop: Header=BB1_453 Depth=4
	s_or_b32 exec_lo, exec_lo, s40
	s_mov_b32 s2, -1
	s_or_b32 s39, s39, exec_lo
	s_mov_b32 s40, exec_lo
	v_cmpx_ne_u32_e32 0, v1
	s_cbranch_execz .LBB1_452
; %bb.456:                              ;   in Loop: Header=BB1_453 Depth=4
	s_add_co_i32 s37, s37, 1
	s_and_not1_b32 s39, s39, exec_lo
	v_cmp_eq_u32_e64 s1, s37, v6
	s_or_not1_b32 s2, s1, exec_lo
	s_branch .LBB1_452
.LBB1_457:                              ;   in Loop: Header=BB1_445 Depth=3
	s_or_b32 exec_lo, exec_lo, s36
	s_delay_alu instid0(SALU_CYCLE_1)
	s_or_not1_b32 s2, s38, exec_lo
.LBB1_458:                              ;   in Loop: Header=BB1_445 Depth=3
	s_or_b32 exec_lo, exec_lo, s35
	s_mov_b32 s1, 0
	s_and_saveexec_b32 s35, s2
	s_delay_alu instid0(SALU_CYCLE_1)
	s_xor_b32 s2, exec_lo, s35
; %bb.459:                              ;   in Loop: Header=BB1_445 Depth=3
	s_mov_b32 s1, exec_lo
; %bb.460:                              ;   in Loop: Header=BB1_445 Depth=3
	s_or_b32 exec_lo, exec_lo, s2
	s_delay_alu instid0(SALU_CYCLE_1)
	s_and_b32 s2, s1, exec_lo
.LBB1_461:                              ;   in Loop: Header=BB1_445 Depth=3
	s_or_b32 exec_lo, exec_lo, s34
	s_delay_alu instid0(SALU_CYCLE_1)
	s_or_not1_b32 s2, s2, exec_lo
.LBB1_462:                              ;   in Loop: Header=BB1_445 Depth=3
	s_or_b32 exec_lo, exec_lo, s31
	s_delay_alu instid0(SALU_CYCLE_1)
	s_and_b32 s31, s2, exec_lo
                                        ; implicit-def: $vgpr8
                                        ; implicit-def: $vgpr0_vgpr1
.LBB1_463:                              ;   in Loop: Header=BB1_445 Depth=3
	s_and_not1_saveexec_b32 s33, s33
	s_cbranch_execz .LBB1_480
; %bb.464:                              ;   in Loop: Header=BB1_445 Depth=3
	s_mov_b32 s34, exec_lo
	v_cmpx_eq_u32_e64 v8, v3
	s_cbranch_execz .LBB1_479
; %bb.465:                              ;   in Loop: Header=BB1_445 Depth=3
	s_clause 0x3
	global_load_b128 v[6:9], v[0:1], off
	global_load_b128 v[24:27], v[0:1], off offset:12
	global_load_b128 v[40:43], v[22:23], off offset:4
	global_load_u8 v10, v[22:23], off offset:24
	s_mov_b32 s1, -1
	s_wait_loadcnt 0x3
	scratch_store_b128 off, v[6:9], off offset:56
	s_wait_loadcnt 0x2
	scratch_store_b128 off, v[24:27], off offset:68
	s_wait_loadcnt 0x1
	ds_store_2addr_b32 v30, v40, v41 offset0:1 offset1:2
	ds_store_2addr_b32 v30, v42, v43 offset0:3 offset1:4
	ds_store_b32 v30, v2 offset:20
	s_wait_loadcnt 0x0
	ds_store_b8 v30, v10 offset:24
	s_wait_xcnt 0x0
	s_and_saveexec_b32 s35, vcc_lo
	s_cbranch_execz .LBB1_477
; %bb.466:                              ;   in Loop: Header=BB1_445 Depth=3
	scratch_load_b32 v6, off, off offset:76
	s_mov_b32 s37, -1
	s_mov_b32 s2, 0
	s_mov_b32 s36, exec_lo
	s_wait_loadcnt 0x0
	v_bfe_u32 v6, v6, 27, 4
	s_wait_xcnt 0x0
	s_delay_alu instid0(VALU_DEP_1)
	v_cmpx_ne_u32_e32 0, v6
	s_cbranch_execz .LBB1_474
; %bb.467:                              ;   in Loop: Header=BB1_445 Depth=3
	s_mov_b32 s37, 0
	s_mov_b32 s39, 0
                                        ; implicit-def: $sgpr38
                                        ; implicit-def: $sgpr40
	s_branch .LBB1_469
.LBB1_468:                              ;   in Loop: Header=BB1_469 Depth=4
	s_or_b32 exec_lo, exec_lo, s41
	s_delay_alu instid0(SALU_CYCLE_1) | instskip(NEXT) | instid1(SALU_CYCLE_1)
	s_and_b32 s1, exec_lo, s2
	s_or_b32 s37, s1, s37
	s_and_not1_b32 s1, s38, exec_lo
	s_and_b32 s2, s40, exec_lo
	s_delay_alu instid0(SALU_CYCLE_1)
	s_or_b32 s38, s1, s2
	s_and_not1_b32 exec_lo, exec_lo, s37
	s_cbranch_execz .LBB1_473
.LBB1_469:                              ;   Parent Loop BB1_3 Depth=1
                                        ;     Parent Loop BB1_6 Depth=2
                                        ;       Parent Loop BB1_445 Depth=3
                                        ; =>      This Loop Header: Depth=4
                                        ;           Child Loop BB1_470 Depth 5
	v_lshl_add_u32 v7, s39, 2, v30
	s_mov_b32 s41, 0
	s_mov_b32 s42, s9
	v_mov_b32_e32 v9, v6
	ds_load_b32 v8, v7 offset:4
	v_mov_b32_e32 v7, 0
.LBB1_470:                              ;   Parent Loop BB1_3 Depth=1
                                        ;     Parent Loop BB1_6 Depth=2
                                        ;       Parent Loop BB1_445 Depth=3
                                        ;         Parent Loop BB1_469 Depth=4
                                        ; =>        This Inner Loop Header: Depth=5
	scratch_load_b32 v10, off, s42
	s_wait_xcnt 0x0
	s_add_co_i32 s42, s42, 4
	s_wait_loadcnt_dscnt 0x0
	v_cmp_ne_u32_e64 s2, v10, v8
	s_delay_alu instid0(VALU_DEP_1) | instskip(NEXT) | instid1(VALU_DEP_1)
	v_dual_add_nc_u32 v9, -1, v9 :: v_dual_cndmask_b32 v7, 1, v7, s2
	v_cmp_eq_u32_e64 s1, 0, v9
	s_or_b32 s41, s1, s41
	s_delay_alu instid0(SALU_CYCLE_1)
	s_and_not1_b32 exec_lo, exec_lo, s41
	s_cbranch_execnz .LBB1_470
; %bb.471:                              ;   in Loop: Header=BB1_469 Depth=4
	s_or_b32 exec_lo, exec_lo, s41
	s_mov_b32 s2, -1
	s_or_b32 s40, s40, exec_lo
	s_mov_b32 s41, exec_lo
	v_cmpx_ne_u32_e32 0, v7
	s_cbranch_execz .LBB1_468
; %bb.472:                              ;   in Loop: Header=BB1_469 Depth=4
	s_add_co_i32 s39, s39, 1
	s_and_not1_b32 s40, s40, exec_lo
	v_cmp_eq_u32_e64 s1, s39, v5
	s_or_not1_b32 s2, s1, exec_lo
	s_branch .LBB1_468
.LBB1_473:                              ;   in Loop: Header=BB1_445 Depth=3
	s_or_b32 exec_lo, exec_lo, s37
	s_delay_alu instid0(SALU_CYCLE_1)
	s_mov_b32 s2, exec_lo
	s_or_not1_b32 s37, s38, exec_lo
.LBB1_474:                              ;   in Loop: Header=BB1_445 Depth=3
	s_or_b32 exec_lo, exec_lo, s36
	s_and_saveexec_b32 s1, s37
; %bb.475:                              ;   in Loop: Header=BB1_445 Depth=3
	s_and_not1_b32 s2, s2, exec_lo
; %bb.476:                              ;   in Loop: Header=BB1_445 Depth=3
	s_or_b32 exec_lo, exec_lo, s1
	s_delay_alu instid0(SALU_CYCLE_1)
	s_or_not1_b32 s1, s2, exec_lo
.LBB1_477:                              ;   in Loop: Header=BB1_445 Depth=3
	s_or_b32 exec_lo, exec_lo, s35
	s_delay_alu instid0(SALU_CYCLE_1)
	s_and_b32 exec_lo, exec_lo, s1
	s_cbranch_execz .LBB1_479
; %bb.478:                              ;   in Loop: Header=BB1_445 Depth=3
	global_store_b8 v[0:1], v38, off offset:24
.LBB1_479:                              ;   in Loop: Header=BB1_445 Depth=3
	s_wait_xcnt 0x0
	s_or_b32 exec_lo, exec_lo, s34
	s_delay_alu instid0(SALU_CYCLE_1)
	s_or_b32 s31, s31, exec_lo
.LBB1_480:                              ;   in Loop: Header=BB1_445 Depth=3
	s_or_b32 exec_lo, exec_lo, s33
	s_delay_alu instid0(SALU_CYCLE_1)
	s_or_not1_b32 s2, s31, exec_lo
.LBB1_481:                              ;   in Loop: Header=BB1_445 Depth=3
	s_or_b32 exec_lo, exec_lo, s30
	s_delay_alu instid0(SALU_CYCLE_1) | instskip(SKIP_1) | instid1(SALU_CYCLE_1)
	s_and_not1_b32 s0, s0, exec_lo
	s_and_b32 s1, s2, exec_lo
	s_or_b32 s0, s0, s1
.LBB1_482:                              ;   in Loop: Header=BB1_445 Depth=3
	s_or_b32 exec_lo, exec_lo, s29
	s_mov_b32 s1, -1
	s_or_b32 s28, s28, exec_lo
	s_and_saveexec_b32 s2, s0
	s_cbranch_execz .LBB1_444
; %bb.483:                              ;   in Loop: Header=BB1_445 Depth=3
	s_add_co_i32 s26, s26, 1
	s_delay_alu instid0(SALU_CYCLE_1)
	s_cmp_eq_u32 s26, 8
	s_cselect_b32 s0, -1, 0
	s_and_not1_b32 s28, s28, exec_lo
	s_or_not1_b32 s1, s0, exec_lo
	s_branch .LBB1_444
.LBB1_484:                              ;   in Loop: Header=BB1_6 Depth=2
	s_or_b32 exec_lo, exec_lo, s25
	s_and_saveexec_b32 s0, s27
	s_delay_alu instid0(SALU_CYCLE_1)
	s_xor_b32 s0, exec_lo, s0
	s_cbranch_execz .LBB1_486
; %bb.485:                              ;   in Loop: Header=BB1_6 Depth=2
	global_store_b8 v[22:23], v38, off offset:24
.LBB1_486:                              ;   in Loop: Header=BB1_6 Depth=2
	s_wait_xcnt 0x0
	s_or_b32 exec_lo, exec_lo, s0
.LBB1_487:                              ;   in Loop: Header=BB1_6 Depth=2
	s_delay_alu instid0(SALU_CYCLE_1) | instskip(SKIP_3) | instid1(VALU_DEP_2)
	s_or_b32 exec_lo, exec_lo, s3
	v_bfe_u32 v3, v2, 27, 4
	v_dual_mov_b32 v5, 0 :: v_dual_mov_b32 v0, 0
	s_mov_b32 s1, exec_lo
	v_cmpx_ne_u32_e32 0, v3
	s_cbranch_execz .LBB1_491
; %bb.488:                              ;   in Loop: Header=BB1_6 Depth=2
	v_mad_nc_i64_i32 v[0:1], v4, 28, v[18:19]
	v_dual_mov_b32 v5, 0 :: v_dual_mov_b32 v4, 0
	v_mov_b32_e32 v6, v3
	s_mov_b32 s2, 0
.LBB1_489:                              ;   Parent Loop BB1_3 Depth=1
                                        ;     Parent Loop BB1_6 Depth=2
                                        ; =>    This Inner Loop Header: Depth=3
	global_load_b32 v7, v[0:1], off
	s_wait_xcnt 0x0
	v_add_nc_u64_e32 v[0:1], 4, v[0:1]
	s_wait_loadcnt 0x0
	global_load_b32 v7, v7, s[12:13] scale_offset
	s_wait_loadcnt 0x0
	v_dual_add_nc_u32 v6, -1, v6 :: v_dual_add_nc_u32 v4, v7, v4
	v_cmp_eq_u32_e64 s0, 1, v7
	s_delay_alu instid0(VALU_DEP_2) | instskip(NEXT) | instid1(VALU_DEP_2)
	v_cmp_eq_u32_e32 vcc_lo, 0, v6
	v_add_co_ci_u32_e64 v5, null, 0, v5, s0
	s_or_b32 s2, vcc_lo, s2
	s_wait_xcnt 0x0
	s_and_not1_b32 exec_lo, exec_lo, s2
	s_cbranch_execnz .LBB1_489
; %bb.490:                              ;   in Loop: Header=BB1_6 Depth=2
	s_or_b32 exec_lo, exec_lo, s2
	v_min_i32_e32 v0, 0x3e8, v4
.LBB1_491:                              ;   in Loop: Header=BB1_6 Depth=2
	s_or_b32 exec_lo, exec_lo, s1
	v_sub_nc_u32_e32 v1, 5, v5
	v_cmp_lt_u32_e32 vcc_lo, 3, v5
	s_delay_alu instid0(VALU_DEP_2) | instskip(SKIP_2) | instid1(VALU_DEP_3)
	v_cndmask_b32_e32 v0, v0, v1, vcc_lo
	v_cmp_lt_u32_e32 vcc_lo, 1, v3
	v_and_b32_e32 v1, 0x70000000, v2
	v_lshlrev_b32_e32 v0, 16, v0
	s_delay_alu instid0(VALU_DEP_1) | instskip(NEXT) | instid1(VALU_DEP_1)
	v_and_b32_e32 v0, 0x7ff0000, v0
	v_cndmask_b32_e32 v0, 0x3e90000, v0, vcc_lo
	s_delay_alu instid0(VALU_DEP_4) | instskip(NEXT) | instid1(VALU_DEP_2)
	v_cmp_eq_u32_e32 vcc_lo, 0, v1
	v_and_or_b32 v0, 0xf800ffff, v2, v0
	v_cndmask_b32_e64 v8, 0, 1, vcc_lo
	global_store_b32 v[22:23], v0, off offset:20
                                        ; implicit-def: $vgpr22_vgpr23
.LBB1_492:                              ;   in Loop: Header=BB1_6 Depth=2
	s_wait_xcnt 0x0
	s_and_not1_saveexec_b32 s0, s24
	s_cbranch_execz .LBB1_494
; %bb.493:                              ;   in Loop: Header=BB1_6 Depth=2
	v_mov_b32_e32 v8, 7
	global_store_b8 v[22:23], v38, off offset:24
.LBB1_494:                              ;   in Loop: Header=BB1_6 Depth=2
	s_wait_xcnt 0x0
	s_or_b32 exec_lo, exec_lo, s0
.LBB1_495:                              ;   in Loop: Header=BB1_6 Depth=2
	s_delay_alu instid0(SALU_CYCLE_1)
	s_or_b32 exec_lo, exec_lo, s23
.LBB1_496:                              ;   in Loop: Header=BB1_6 Depth=2
	s_delay_alu instid0(SALU_CYCLE_1)
	s_or_b32 exec_lo, exec_lo, s22
	s_mov_b32 s0, -1
	s_mov_b32 s1, exec_lo
	v_cmpx_gt_i32_e32 7, v8
; %bb.497:                              ;   in Loop: Header=BB1_6 Depth=2
	v_cmp_eq_u32_e32 vcc_lo, 0, v8
	s_or_not1_b32 s0, vcc_lo, exec_lo
; %bb.498:                              ;   in Loop: Header=BB1_6 Depth=2
	s_or_b32 exec_lo, exec_lo, s1
	s_delay_alu instid0(SALU_CYCLE_1)
	s_or_not1_b32 s2, s0, exec_lo
.LBB1_499:                              ;   in Loop: Header=BB1_6 Depth=2
	s_or_b32 exec_lo, exec_lo, s21
	s_mov_b32 s0, -1
	s_and_saveexec_b32 s1, s2
	s_cbranch_execz .LBB1_5
; %bb.500:                              ;   in Loop: Header=BB1_6 Depth=2
	s_add_co_i32 s17, s17, 1
	s_delay_alu instid0(SALU_CYCLE_1)
	s_cmp_eq_u32 s17, 8
	s_cselect_b32 s2, -1, 0
	s_xor_b32 s0, exec_lo, -1
	s_or_not1_b32 s20, s2, exec_lo
	s_branch .LBB1_5
.LBB1_501:                              ;   in Loop: Header=BB1_3 Depth=1
	s_or_b32 exec_lo, exec_lo, s16
	s_delay_alu instid0(SALU_CYCLE_1)
	s_or_not1_b32 s0, s19, exec_lo
.LBB1_502:                              ;   in Loop: Header=BB1_3 Depth=1
	s_or_b32 exec_lo, exec_lo, s11
	s_mov_b32 s1, -1
	s_and_saveexec_b32 s2, s0
	s_cbranch_execz .LBB1_2
; %bb.503:                              ;   in Loop: Header=BB1_3 Depth=1
	s_add_co_i32 s10, s10, 1
	s_delay_alu instid0(SALU_CYCLE_1) | instskip(SKIP_1) | instid1(SALU_CYCLE_1)
	s_cmp_eq_u32 s10, 8
	s_cselect_b32 s0, -1, 0
	s_or_not1_b32 s1, s0, exec_lo
	s_branch .LBB1_2
.LBB1_504:
	s_endpgm
	.section	.rodata,"a",@progbits
	.p2align	6, 0x0
	.amdhsa_kernel _Z12CutEnumeratePiS_S_S_S_PN2rw3CutEii
		.amdhsa_group_segment_fixed_size 146432
		.amdhsa_private_segment_fixed_size 256
		.amdhsa_kernarg_size 312
		.amdhsa_user_sgpr_count 4
		.amdhsa_user_sgpr_dispatch_ptr 1
		.amdhsa_user_sgpr_queue_ptr 0
		.amdhsa_user_sgpr_kernarg_segment_ptr 1
		.amdhsa_user_sgpr_dispatch_id 0
		.amdhsa_user_sgpr_kernarg_preload_length 0
		.amdhsa_user_sgpr_kernarg_preload_offset 0
		.amdhsa_user_sgpr_private_segment_size 0
		.amdhsa_wavefront_size32 1
		.amdhsa_uses_dynamic_stack 0
		.amdhsa_enable_private_segment 1
		.amdhsa_system_sgpr_workgroup_id_x 1
		.amdhsa_system_sgpr_workgroup_id_y 0
		.amdhsa_system_sgpr_workgroup_id_z 0
		.amdhsa_system_sgpr_workgroup_info 0
		.amdhsa_system_vgpr_workitem_id 2
		.amdhsa_next_free_vgpr 56
		.amdhsa_next_free_sgpr 43
		.amdhsa_named_barrier_count 0
		.amdhsa_reserve_vcc 1
		.amdhsa_float_round_mode_32 0
		.amdhsa_float_round_mode_16_64 0
		.amdhsa_float_denorm_mode_32 3
		.amdhsa_float_denorm_mode_16_64 3
		.amdhsa_fp16_overflow 0
		.amdhsa_memory_ordered 1
		.amdhsa_forward_progress 1
		.amdhsa_inst_pref_size 111
		.amdhsa_round_robin_scheduling 0
		.amdhsa_exception_fp_ieee_invalid_op 0
		.amdhsa_exception_fp_denorm_src 0
		.amdhsa_exception_fp_ieee_div_zero 0
		.amdhsa_exception_fp_ieee_overflow 0
		.amdhsa_exception_fp_ieee_underflow 0
		.amdhsa_exception_fp_ieee_inexact 0
		.amdhsa_exception_int_div_zero 0
	.end_amdhsa_kernel
	.text
.Lfunc_end1:
	.size	_Z12CutEnumeratePiS_S_S_S_PN2rw3CutEii, .Lfunc_end1-_Z12CutEnumeratePiS_S_S_S_PN2rw3CutEii
                                        ; -- End function
	.set _Z12CutEnumeratePiS_S_S_S_PN2rw3CutEii.num_vgpr, 56
	.set _Z12CutEnumeratePiS_S_S_S_PN2rw3CutEii.num_agpr, 0
	.set _Z12CutEnumeratePiS_S_S_S_PN2rw3CutEii.numbered_sgpr, 43
	.set _Z12CutEnumeratePiS_S_S_S_PN2rw3CutEii.num_named_barrier, 0
	.set _Z12CutEnumeratePiS_S_S_S_PN2rw3CutEii.private_seg_size, 256
	.set _Z12CutEnumeratePiS_S_S_S_PN2rw3CutEii.uses_vcc, 1
	.set _Z12CutEnumeratePiS_S_S_S_PN2rw3CutEii.uses_flat_scratch, 1
	.set _Z12CutEnumeratePiS_S_S_S_PN2rw3CutEii.has_dyn_sized_stack, 0
	.set _Z12CutEnumeratePiS_S_S_S_PN2rw3CutEii.has_recursion, 0
	.set _Z12CutEnumeratePiS_S_S_S_PN2rw3CutEii.has_indirect_call, 0
	.section	.AMDGPU.csdata,"",@progbits
; Kernel info:
; codeLenInByte = 14152
; TotalNumSgprs: 45
; NumVgprs: 56
; ScratchSize: 256
; MemoryBound: 0
; FloatMode: 240
; IeeeMode: 1
; LDSByteSize: 146432 bytes/workgroup (compile time only)
; SGPRBlocks: 0
; VGPRBlocks: 3
; NumSGPRsForWavesPerEU: 45
; NumVGPRsForWavesPerEU: 56
; NamedBarCnt: 0
; Occupancy: 16
; WaveLimiterHint : 1
; COMPUTE_PGM_RSRC2:SCRATCH_EN: 1
; COMPUTE_PGM_RSRC2:USER_SGPR: 4
; COMPUTE_PGM_RSRC2:TRAP_HANDLER: 0
; COMPUTE_PGM_RSRC2:TGID_X_EN: 1
; COMPUTE_PGM_RSRC2:TGID_Y_EN: 0
; COMPUTE_PGM_RSRC2:TGID_Z_EN: 0
; COMPUTE_PGM_RSRC2:TIDIG_COMP_CNT: 2
	.text
	.p2align	2                               ; -- Begin function _Z8CalcMFFCiPN2rw3CutEPiS2_S2_S2_S2_S2_i
	.type	_Z8CalcMFFCiPN2rw3CutEPiS2_S2_S2_S2_S2_i,@function
_Z8CalcMFFCiPN2rw3CutEPiS2_S2_S2_S2_S2_i: ; @_Z8CalcMFFCiPN2rw3CutEPiS2_S2_S2_S2_S2_i
; %bb.0:
	s_wait_loadcnt_dscnt 0x0
	s_wait_kmcnt 0x0
	s_mov_b32 s0, s33
	s_mov_b32 s33, s32
	s_or_saveexec_b32 s1, -1
	scratch_store_b32 off, v75, s33 offset:76 ; 4-byte Folded Spill
	s_wait_xcnt 0x0
	s_mov_b32 exec_lo, s1
	v_writelane_b32 v75, s0, 6
	s_addk_co_i32 s32, 0x60
	s_clause 0x12
	scratch_store_b32 off, v40, s33 offset:72
	; meta instruction
	scratch_store_b32 off, v41, s33 offset:68
	; meta instruction
	;; [unrolled: 2-line block ×18, first 2 shown]
	scratch_store_b32 off, v74, s33
	v_writelane_b32 v75, s34, 0
	v_writelane_b32 v75, s35, 1
	;; [unrolled: 1-line block ×6, first 2 shown]
	s_wait_xcnt 0x7
	v_dual_mov_b32 v57, v8 :: v_dual_mov_b32 v59, v2
	v_dual_mov_b32 v58, v1 :: v_dual_mov_b32 v56, v7
	;; [unrolled: 1-line block ×4, first 2 shown]
	s_wait_xcnt 0x1
	s_delay_alu instid0(VALU_DEP_3)
	v_add_nc_u64_e32 v[72:73], 4, v[58:59]
	v_dual_mov_b32 v47, v10 :: v_dual_mov_b32 v46, v9
	v_dual_mov_b32 v61, v6 :: v_dual_mov_b32 v60, v5
	;; [unrolled: 1-line block ×4, first 2 shown]
	s_mov_b32 s36, 0
	s_get_pc_i64 s[34:35]
	s_add_nc_u64 s[34:35], s[34:35], _Z8CalcMFFCiPN2rw3CutEPiS2_S2_S2_S2_S2_i@rel64+4
	s_branch .LBB2_2
.LBB2_1:                                ;   in Loop: Header=BB2_2 Depth=1
	s_wait_xcnt 0x0
	s_or_b32 exec_lo, exec_lo, s1
	s_delay_alu instid0(SALU_CYCLE_1) | instskip(NEXT) | instid1(SALU_CYCLE_1)
	s_and_b32 s0, exec_lo, s0
	s_or_b32 s36, s0, s36
	s_delay_alu instid0(SALU_CYCLE_1)
	s_and_not1_b32 exec_lo, exec_lo, s36
	s_cbranch_execz .LBB2_46
.LBB2_2:                                ; =>This Loop Header: Depth=1
                                        ;     Child Loop BB2_5 Depth 2
                                        ;     Child Loop BB2_12 Depth 2
	;; [unrolled: 1-line block ×4, first 2 shown]
	s_wait_xcnt 0x0
	s_wait_loadcnt_dscnt 0x0
	v_dual_mov_b32 v74, v4 :: v_dual_ashrrev_i32 v41, 31, v40
	flat_load_b32 v3, v[58:59] offset:20
	s_mov_b32 s1, -1
	s_mov_b32 s0, exec_lo
	v_lshl_add_u64 v[0:1], v[40:41], 2, v[62:63]
	flat_load_b32 v2, v[0:1]
	s_wait_loadcnt_dscnt 0x101
	v_bfe_u32 v3, v3, 27, 4
	s_wait_xcnt 0x0
	s_delay_alu instid0(VALU_DEP_1)
	v_cmpx_ne_u32_e32 0, v3
	s_cbranch_execz .LBB2_8
; %bb.3:                                ;   in Loop: Header=BB2_2 Depth=1
	v_mov_b64_e32 v[4:5], v[72:73]
	s_mov_b32 s1, 0
                                        ; implicit-def: $sgpr2
                                        ; implicit-def: $sgpr4
                                        ; implicit-def: $sgpr3
	s_branch .LBB2_5
.LBB2_4:                                ;   in Loop: Header=BB2_5 Depth=2
	s_or_b32 exec_lo, exec_lo, s5
	s_xor_b32 s5, s3, -1
	s_and_b32 s6, exec_lo, s4
	s_delay_alu instid0(SALU_CYCLE_1) | instskip(SKIP_2) | instid1(SALU_CYCLE_1)
	s_or_b32 s1, s6, s1
	s_and_not1_b32 s2, s2, exec_lo
	s_and_b32 s5, s5, exec_lo
	s_or_b32 s2, s2, s5
	s_and_not1_b32 exec_lo, exec_lo, s1
	s_cbranch_execz .LBB2_7
.LBB2_5:                                ;   Parent Loop BB2_2 Depth=1
                                        ; =>  This Inner Loop Header: Depth=2
	flat_load_b32 v6, v[4:5]
	s_or_b32 s3, s3, exec_lo
	s_or_b32 s4, s4, exec_lo
	s_mov_b32 s5, exec_lo
	s_wait_loadcnt_dscnt 0x0
	v_cmpx_ne_u32_e64 v2, v6
	s_cbranch_execz .LBB2_4
; %bb.6:                                ;   in Loop: Header=BB2_5 Depth=2
	v_add_nc_u32_e32 v3, -1, v3
	v_add_nc_u64_e32 v[4:5], 4, v[4:5]
	s_and_not1_b32 s4, s4, exec_lo
	s_and_not1_b32 s3, s3, exec_lo
	s_delay_alu instid0(VALU_DEP_2) | instskip(SKIP_1) | instid1(SALU_CYCLE_1)
	v_cmp_eq_u32_e32 vcc_lo, 0, v3
	s_and_b32 s6, vcc_lo, exec_lo
	s_or_b32 s4, s4, s6
	s_branch .LBB2_4
.LBB2_7:                                ;   in Loop: Header=BB2_2 Depth=1
	s_or_b32 exec_lo, exec_lo, s1
	s_delay_alu instid0(SALU_CYCLE_1)
	s_or_not1_b32 s1, s2, exec_lo
.LBB2_8:                                ;   in Loop: Header=BB2_2 Depth=1
	s_or_b32 exec_lo, exec_lo, s0
	v_mov_b32_e32 v5, 1
	s_and_saveexec_b32 s4, s1
	s_cbranch_execz .LBB2_22
; %bb.9:                                ;   in Loop: Header=BB2_2 Depth=1
	flat_load_b32 v3, v[56:57]
	v_mov_b32_e32 v5, 1
	s_mov_b32 s0, 0
	s_mov_b32 s5, exec_lo
	s_wait_loadcnt_dscnt 0x0
	v_cmpx_lt_i32_e32 0, v3
	s_cbranch_execz .LBB2_17
; %bb.10:                               ;   in Loop: Header=BB2_2 Depth=1
	v_mov_b64_e32 v[4:5], v[46:47]
	s_mov_b64 s[0:1], 0
	s_mov_b32 s7, 0
                                        ; implicit-def: $sgpr6
                                        ; implicit-def: $sgpr9
                                        ; implicit-def: $sgpr8
	s_branch .LBB2_12
.LBB2_11:                               ;   in Loop: Header=BB2_12 Depth=2
	s_or_b32 exec_lo, exec_lo, s10
	s_delay_alu instid0(SALU_CYCLE_1) | instskip(SKIP_4) | instid1(SALU_CYCLE_1)
	s_and_b32 s10, exec_lo, s9
	v_mov_b64_e32 v[6:7], s[0:1]
	s_or_b32 s7, s10, s7
	s_and_not1_b32 s0, s6, exec_lo
	s_and_b32 s1, s8, exec_lo
	s_or_b32 s6, s0, s1
	s_mov_b64 s[0:1], s[2:3]
	s_and_not1_b32 exec_lo, exec_lo, s7
	s_cbranch_execz .LBB2_14
.LBB2_12:                               ;   Parent Loop BB2_2 Depth=1
                                        ; =>  This Inner Loop Header: Depth=2
	flat_load_b32 v6, v[4:5]
	s_or_b32 s8, s8, exec_lo
	s_or_b32 s9, s9, exec_lo
	s_mov_b32 s10, exec_lo
                                        ; implicit-def: $sgpr2_sgpr3
	s_wait_loadcnt_dscnt 0x0
	v_cmpx_ne_u32_e64 v6, v2
	s_cbranch_execz .LBB2_11
; %bb.13:                               ;   in Loop: Header=BB2_12 Depth=2
	s_add_nc_u64 s[2:3], s[0:1], 1
	v_add_nc_u64_e32 v[4:5], 4, v[4:5]
	v_cmp_eq_u32_e32 vcc_lo, s2, v3
	s_and_not1_b32 s9, s9, exec_lo
	s_and_not1_b32 s8, s8, exec_lo
	s_and_b32 s11, vcc_lo, exec_lo
	s_delay_alu instid0(SALU_CYCLE_1)
	s_or_b32 s9, s9, s11
	s_branch .LBB2_11
.LBB2_14:                               ;   in Loop: Header=BB2_2 Depth=1
	s_or_b32 exec_lo, exec_lo, s7
	v_mov_b32_e32 v5, 1
	s_mov_b32 s0, 0
	s_and_saveexec_b32 s1, s6
	s_delay_alu instid0(SALU_CYCLE_1)
	s_xor_b32 s1, exec_lo, s1
	s_cbranch_execz .LBB2_16
; %bb.15:                               ;   in Loop: Header=BB2_2 Depth=1
	v_lshl_add_u64 v[6:7], v[6:7], 2, v[44:45]
	s_mov_b32 s0, exec_lo
	flat_load_b32 v3, v[6:7]
	s_wait_loadcnt_dscnt 0x0
	v_add_nc_u32_e32 v5, -1, v3
	flat_store_b32 v[6:7], v5
.LBB2_16:                               ;   in Loop: Header=BB2_2 Depth=1
	s_wait_xcnt 0x0
	s_or_b32 exec_lo, exec_lo, s1
	s_delay_alu instid0(SALU_CYCLE_1)
	s_and_b32 s0, s0, exec_lo
.LBB2_17:                               ;   in Loop: Header=BB2_2 Depth=1
	s_or_b32 exec_lo, exec_lo, s5
	s_xor_b32 s1, s0, -1
	s_delay_alu instid0(SALU_CYCLE_1)
	s_and_saveexec_b32 s0, s1
	s_cbranch_execz .LBB2_21
; %bb.18:                               ;   in Loop: Header=BB2_2 Depth=1
	flat_load_b32 v4, v[56:57]
	v_mov_b32_e32 v5, 1
	s_mov_b32 s1, exec_lo
	s_wait_loadcnt_dscnt 0x0
	v_cmpx_ne_u32_e32 8, v4
	s_cbranch_execz .LBB2_20
; %bb.19:                               ;   in Loop: Header=BB2_2 Depth=1
	v_dual_ashrrev_i32 v5, 31, v4 :: v_dual_ashrrev_i32 v3, 31, v2
	s_delay_alu instid0(VALU_DEP_1)
	v_lshl_add_u64 v[4:5], v[4:5], 2, v[46:47]
	flat_store_b32 v[4:5], v2
	s_wait_xcnt 0x0
	v_lshl_add_u64 v[2:3], v[2:3], 2, v[42:43]
	flat_load_b32 v4, v[56:57]
	flat_load_b32 v6, v[2:3]
	s_wait_loadcnt_dscnt 0x0
	v_dual_ashrrev_i32 v5, 31, v4 :: v_dual_add_nc_u32 v6, -1, v6
	s_delay_alu instid0(VALU_DEP_1)
	v_lshl_add_u64 v[4:5], v[4:5], 2, v[44:45]
	flat_store_b32 v[4:5], v6
	flat_load_b32 v4, v[56:57]
	s_wait_loadcnt_dscnt 0x0
	v_add_nc_u32_e32 v4, 1, v4
	flat_store_b32 v[56:57], v4
	flat_load_b32 v2, v[2:3]
	s_wait_loadcnt_dscnt 0x0
	v_add_nc_u32_e32 v5, -1, v2
.LBB2_20:                               ;   in Loop: Header=BB2_2 Depth=1
	s_wait_xcnt 0x0
	s_or_b32 exec_lo, exec_lo, s1
.LBB2_21:                               ;   in Loop: Header=BB2_2 Depth=1
	s_delay_alu instid0(SALU_CYCLE_1)
	s_or_b32 exec_lo, exec_lo, s0
.LBB2_22:                               ;   in Loop: Header=BB2_2 Depth=1
	s_delay_alu instid0(SALU_CYCLE_1)
	s_or_b32 exec_lo, exec_lo, s4
	v_mov_b32_e32 v8, 1
	s_mov_b32 s37, exec_lo
	v_cmpx_eq_u32_e32 0, v5
	s_cbranch_execz .LBB2_24
; %bb.23:                               ;   in Loop: Header=BB2_2 Depth=1
	flat_load_b32 v0, v[0:1]
	s_wait_loadcnt_dscnt 0x101
	s_wait_xcnt 0x0
	v_dual_mov_b32 v1, v58 :: v_dual_mov_b32 v2, v59
	v_dual_mov_b32 v3, v62 :: v_dual_mov_b32 v4, v63
	;; [unrolled: 1-line block ×7, first 2 shown]
	s_swap_pc_i64 s[30:31], s[34:35]
	v_add_nc_u32_e32 v8, 1, v0
.LBB2_24:                               ;   in Loop: Header=BB2_2 Depth=1
	s_or_b32 exec_lo, exec_lo, s37
	flat_load_b32 v3, v[58:59] offset:20
	v_lshl_add_u64 v[0:1], v[40:41], 2, v[60:61]
	s_mov_b32 s1, -1
	s_mov_b32 s0, exec_lo
	s_wait_loadcnt_dscnt 0x101
	flat_load_b32 v2, v[0:1]
	s_wait_loadcnt_dscnt 0x101
	v_bfe_u32 v3, v3, 27, 4
	s_wait_xcnt 0x0
	s_delay_alu instid0(VALU_DEP_1)
	v_cmpx_ne_u32_e32 0, v3
	s_cbranch_execz .LBB2_30
; %bb.25:                               ;   in Loop: Header=BB2_2 Depth=1
	v_mov_b64_e32 v[4:5], v[72:73]
	s_mov_b32 s1, 0
                                        ; implicit-def: $sgpr2
                                        ; implicit-def: $sgpr4
                                        ; implicit-def: $sgpr3
	s_branch .LBB2_27
.LBB2_26:                               ;   in Loop: Header=BB2_27 Depth=2
	s_or_b32 exec_lo, exec_lo, s5
	s_xor_b32 s5, s3, -1
	s_and_b32 s6, exec_lo, s4
	s_delay_alu instid0(SALU_CYCLE_1) | instskip(SKIP_2) | instid1(SALU_CYCLE_1)
	s_or_b32 s1, s6, s1
	s_and_not1_b32 s2, s2, exec_lo
	s_and_b32 s5, s5, exec_lo
	s_or_b32 s2, s2, s5
	s_and_not1_b32 exec_lo, exec_lo, s1
	s_cbranch_execz .LBB2_29
.LBB2_27:                               ;   Parent Loop BB2_2 Depth=1
                                        ; =>  This Inner Loop Header: Depth=2
	flat_load_b32 v6, v[4:5]
	s_or_b32 s3, s3, exec_lo
	s_or_b32 s4, s4, exec_lo
	s_mov_b32 s5, exec_lo
	s_wait_loadcnt_dscnt 0x0
	v_cmpx_ne_u32_e64 v2, v6
	s_cbranch_execz .LBB2_26
; %bb.28:                               ;   in Loop: Header=BB2_27 Depth=2
	v_add_nc_u32_e32 v3, -1, v3
	v_add_nc_u64_e32 v[4:5], 4, v[4:5]
	s_and_not1_b32 s4, s4, exec_lo
	s_and_not1_b32 s3, s3, exec_lo
	s_delay_alu instid0(VALU_DEP_2) | instskip(SKIP_1) | instid1(SALU_CYCLE_1)
	v_cmp_eq_u32_e32 vcc_lo, 0, v3
	s_and_b32 s6, vcc_lo, exec_lo
	s_or_b32 s4, s4, s6
	s_branch .LBB2_26
.LBB2_29:                               ;   in Loop: Header=BB2_2 Depth=1
	s_or_b32 exec_lo, exec_lo, s1
	s_delay_alu instid0(SALU_CYCLE_1)
	s_or_not1_b32 s1, s2, exec_lo
.LBB2_30:                               ;   in Loop: Header=BB2_2 Depth=1
	s_or_b32 exec_lo, exec_lo, s0
	v_mov_b32_e32 v5, 1
	s_and_saveexec_b32 s4, s1
	s_cbranch_execz .LBB2_44
; %bb.31:                               ;   in Loop: Header=BB2_2 Depth=1
	flat_load_b32 v3, v[56:57]
	v_mov_b32_e32 v5, 1
	s_mov_b32 s0, 0
	s_mov_b32 s5, exec_lo
	s_wait_loadcnt_dscnt 0x0
	v_cmpx_lt_i32_e32 0, v3
	s_cbranch_execz .LBB2_39
; %bb.32:                               ;   in Loop: Header=BB2_2 Depth=1
	v_mov_b64_e32 v[4:5], v[46:47]
	s_mov_b64 s[0:1], 0
	s_mov_b32 s7, 0
                                        ; implicit-def: $sgpr6
                                        ; implicit-def: $sgpr9
                                        ; implicit-def: $sgpr8
	s_branch .LBB2_34
.LBB2_33:                               ;   in Loop: Header=BB2_34 Depth=2
	s_or_b32 exec_lo, exec_lo, s10
	s_delay_alu instid0(SALU_CYCLE_1) | instskip(SKIP_4) | instid1(SALU_CYCLE_1)
	s_and_b32 s10, exec_lo, s9
	v_mov_b64_e32 v[6:7], s[0:1]
	s_or_b32 s7, s10, s7
	s_and_not1_b32 s0, s6, exec_lo
	s_and_b32 s1, s8, exec_lo
	s_or_b32 s6, s0, s1
	s_mov_b64 s[0:1], s[2:3]
	s_and_not1_b32 exec_lo, exec_lo, s7
	s_cbranch_execz .LBB2_36
.LBB2_34:                               ;   Parent Loop BB2_2 Depth=1
                                        ; =>  This Inner Loop Header: Depth=2
	flat_load_b32 v6, v[4:5]
	s_or_b32 s8, s8, exec_lo
	s_or_b32 s9, s9, exec_lo
	s_mov_b32 s10, exec_lo
                                        ; implicit-def: $sgpr2_sgpr3
	s_wait_loadcnt_dscnt 0x0
	v_cmpx_ne_u32_e64 v6, v2
	s_cbranch_execz .LBB2_33
; %bb.35:                               ;   in Loop: Header=BB2_34 Depth=2
	s_add_nc_u64 s[2:3], s[0:1], 1
	v_add_nc_u64_e32 v[4:5], 4, v[4:5]
	v_cmp_eq_u32_e32 vcc_lo, s2, v3
	s_and_not1_b32 s9, s9, exec_lo
	s_and_not1_b32 s8, s8, exec_lo
	s_and_b32 s11, vcc_lo, exec_lo
	s_delay_alu instid0(SALU_CYCLE_1)
	s_or_b32 s9, s9, s11
	s_branch .LBB2_33
.LBB2_36:                               ;   in Loop: Header=BB2_2 Depth=1
	s_or_b32 exec_lo, exec_lo, s7
	v_mov_b32_e32 v5, 1
	s_mov_b32 s0, 0
	s_and_saveexec_b32 s1, s6
	s_delay_alu instid0(SALU_CYCLE_1)
	s_xor_b32 s1, exec_lo, s1
	s_cbranch_execz .LBB2_38
; %bb.37:                               ;   in Loop: Header=BB2_2 Depth=1
	v_lshl_add_u64 v[6:7], v[6:7], 2, v[44:45]
	s_mov_b32 s0, exec_lo
	flat_load_b32 v3, v[6:7]
	s_wait_loadcnt_dscnt 0x0
	v_add_nc_u32_e32 v5, -1, v3
	flat_store_b32 v[6:7], v5
.LBB2_38:                               ;   in Loop: Header=BB2_2 Depth=1
	s_wait_xcnt 0x0
	s_or_b32 exec_lo, exec_lo, s1
	s_delay_alu instid0(SALU_CYCLE_1)
	s_and_b32 s0, s0, exec_lo
.LBB2_39:                               ;   in Loop: Header=BB2_2 Depth=1
	s_or_b32 exec_lo, exec_lo, s5
	s_xor_b32 s1, s0, -1
	s_delay_alu instid0(SALU_CYCLE_1)
	s_and_saveexec_b32 s0, s1
	s_cbranch_execz .LBB2_43
; %bb.40:                               ;   in Loop: Header=BB2_2 Depth=1
	flat_load_b32 v4, v[56:57]
	v_mov_b32_e32 v5, 1
	s_mov_b32 s1, exec_lo
	s_wait_loadcnt_dscnt 0x0
	v_cmpx_ne_u32_e32 8, v4
	s_cbranch_execz .LBB2_42
; %bb.41:                               ;   in Loop: Header=BB2_2 Depth=1
	v_dual_ashrrev_i32 v5, 31, v4 :: v_dual_ashrrev_i32 v3, 31, v2
	s_delay_alu instid0(VALU_DEP_1)
	v_lshl_add_u64 v[4:5], v[4:5], 2, v[46:47]
	flat_store_b32 v[4:5], v2
	s_wait_xcnt 0x0
	v_lshl_add_u64 v[2:3], v[2:3], 2, v[42:43]
	flat_load_b32 v4, v[56:57]
	flat_load_b32 v6, v[2:3]
	s_wait_loadcnt_dscnt 0x0
	v_dual_ashrrev_i32 v5, 31, v4 :: v_dual_add_nc_u32 v6, -1, v6
	s_delay_alu instid0(VALU_DEP_1)
	v_lshl_add_u64 v[4:5], v[4:5], 2, v[44:45]
	flat_store_b32 v[4:5], v6
	flat_load_b32 v4, v[56:57]
	s_wait_loadcnt_dscnt 0x0
	v_add_nc_u32_e32 v4, 1, v4
	flat_store_b32 v[56:57], v4
	flat_load_b32 v2, v[2:3]
	s_wait_loadcnt_dscnt 0x0
	v_add_nc_u32_e32 v5, -1, v2
.LBB2_42:                               ;   in Loop: Header=BB2_2 Depth=1
	s_wait_xcnt 0x0
	s_or_b32 exec_lo, exec_lo, s1
.LBB2_43:                               ;   in Loop: Header=BB2_2 Depth=1
	s_delay_alu instid0(SALU_CYCLE_1)
	s_or_b32 exec_lo, exec_lo, s0
.LBB2_44:                               ;   in Loop: Header=BB2_2 Depth=1
	s_delay_alu instid0(SALU_CYCLE_1)
	s_or_b32 exec_lo, exec_lo, s4
	s_mov_b32 s0, -1
	s_mov_b32 s1, exec_lo
                                        ; implicit-def: $vgpr40
                                        ; implicit-def: $vgpr4
	v_cmpx_eq_u32_e32 0, v5
	s_cbranch_execz .LBB2_1
; %bb.45:                               ;   in Loop: Header=BB2_2 Depth=1
	flat_load_b32 v40, v[0:1]
	v_add_nc_u32_e32 v4, v8, v74
	s_xor_b32 s0, exec_lo, -1
	s_branch .LBB2_1
.LBB2_46:
	s_or_b32 exec_lo, exec_lo, s36
	v_add_nc_u32_e32 v0, v8, v74
	s_clause 0x11
	scratch_load_b32 v74, off, s33
	scratch_load_b32 v73, off, s33 offset:4
	scratch_load_b32 v72, off, s33 offset:8
	;; [unrolled: 1-line block ×17, first 2 shown]
	s_wait_loadcnt_dscnt 0x1200
	scratch_load_b32 v40, off, s33 offset:72 ; 4-byte Folded Reload
	v_readlane_b32 s30, v75, 4
	v_readlane_b32 s31, v75, 5
	;; [unrolled: 1-line block ×6, first 2 shown]
	s_mov_b32 s32, s33
	v_readlane_b32 s0, v75, 6
	s_wait_xcnt 0x0
	s_or_saveexec_b32 s1, -1
	scratch_load_b32 v75, off, s33 offset:76 ; 4-byte Folded Reload
	s_wait_xcnt 0x0
	s_mov_b32 exec_lo, s1
	s_mov_b32 s33, s0
	s_wait_loadcnt 0x0
	s_set_pc_i64 s[30:31]
.Lfunc_end2:
	.size	_Z8CalcMFFCiPN2rw3CutEPiS2_S2_S2_S2_S2_i, .Lfunc_end2-_Z8CalcMFFCiPN2rw3CutEPiS2_S2_S2_S2_S2_i
                                        ; -- End function
	.set .L_Z8CalcMFFCiPN2rw3CutEPiS2_S2_S2_S2_S2_i.num_vgpr, 76
	.set .L_Z8CalcMFFCiPN2rw3CutEPiS2_S2_S2_S2_S2_i.num_agpr, 0
	.set .L_Z8CalcMFFCiPN2rw3CutEPiS2_S2_S2_S2_S2_i.numbered_sgpr, 38
	.set .L_Z8CalcMFFCiPN2rw3CutEPiS2_S2_S2_S2_S2_i.num_named_barrier, 0
	.set .L_Z8CalcMFFCiPN2rw3CutEPiS2_S2_S2_S2_S2_i.private_seg_size, 96
	.set .L_Z8CalcMFFCiPN2rw3CutEPiS2_S2_S2_S2_S2_i.uses_vcc, 1
	.set .L_Z8CalcMFFCiPN2rw3CutEPiS2_S2_S2_S2_S2_i.uses_flat_scratch, 1
	.set .L_Z8CalcMFFCiPN2rw3CutEPiS2_S2_S2_S2_S2_i.has_dyn_sized_stack, 0
	.set .L_Z8CalcMFFCiPN2rw3CutEPiS2_S2_S2_S2_S2_i.has_recursion, 1
	.set .L_Z8CalcMFFCiPN2rw3CutEPiS2_S2_S2_S2_S2_i.has_indirect_call, 0
	.section	.AMDGPU.csdata,"",@progbits
; Function info:
; codeLenInByte = 2436
; TotalNumSgprs: 40
; NumVgprs: 76
; ScratchSize: 96
; MemoryBound: 0
	.text
	.p2align	2                               ; -- Begin function __ockl_fprintf_append_string_n
	.type	__ockl_fprintf_append_string_n,@function
__ockl_fprintf_append_string_n:         ; @__ockl_fprintf_append_string_n
; %bb.0:
	s_wait_loadcnt_dscnt 0x0
	s_wait_kmcnt 0x0
	v_dual_mov_b32 v9, v3 :: v_dual_mov_b32 v8, v2
	v_or_b32_e32 v2, 2, v0
	v_cmp_eq_u32_e64 s0, 0, v6
	v_mbcnt_lo_u32_b32 v30, -1, 0
	s_mov_b32 s7, 0
	v_cndmask_b32_e64 v0, v2, v0, s0
	s_mov_b32 s0, exec_lo
	v_cmpx_ne_u64_e32 0, v[8:9]
	s_xor_b32 s6, exec_lo, s0
	s_cbranch_execz .LBB3_86
; %bb.1:
	s_load_b64 s[2:3], s[8:9], 0x50
	v_mov_b64_e32 v[12:13], 0x100000002
	v_dual_mov_b32 v11, 0 :: v_dual_bitop2_b32 v6, 2, v0 bitop3:0x40
	v_and_b32_e32 v0, -3, v0
	s_mov_b32 s10, 0
	s_branch .LBB3_3
.LBB3_2:                                ;   in Loop: Header=BB3_3 Depth=1
	s_or_b32 exec_lo, exec_lo, s11
	v_sub_nc_u64_e32 v[4:5], v[4:5], v[32:33]
	v_add_nc_u64_e32 v[8:9], v[8:9], v[32:33]
	s_delay_alu instid0(VALU_DEP_2) | instskip(SKIP_1) | instid1(SALU_CYCLE_1)
	v_cmp_eq_u64_e32 vcc_lo, 0, v[4:5]
	s_or_b32 s10, vcc_lo, s10
	s_and_not1_b32 exec_lo, exec_lo, s10
	s_cbranch_execz .LBB3_85
.LBB3_3:                                ; =>This Loop Header: Depth=1
                                        ;     Child Loop BB3_6 Depth 2
                                        ;     Child Loop BB3_14 Depth 2
	;; [unrolled: 1-line block ×11, first 2 shown]
	v_min_u64 v[32:33], v[4:5], 56
	s_delay_alu instid0(VALU_DEP_3)
	v_add_nc_u64_e32 v[16:17], 8, v[8:9]
	s_mov_b32 s0, exec_lo
	v_cmpx_gt_u64_e32 8, v[4:5]
	s_xor_b32 s4, exec_lo, s0
	s_cbranch_execz .LBB3_9
; %bb.4:                                ;   in Loop: Header=BB3_3 Depth=1
	s_wait_loadcnt 0x0
	v_mov_b64_e32 v[2:3], 0
	s_mov_b32 s5, exec_lo
	v_cmpx_ne_u64_e32 0, v[4:5]
	s_cbranch_execz .LBB3_8
; %bb.5:                                ;   in Loop: Header=BB3_3 Depth=1
	v_mov_b64_e32 v[2:3], 0
	v_mov_b64_e32 v[14:15], v[8:9]
	v_lshlrev_b32_e32 v10, 3, v32
	s_mov_b64 s[0:1], 0
	s_mov_b32 s11, 0
.LBB3_6:                                ;   Parent Loop BB3_3 Depth=1
                                        ; =>  This Inner Loop Header: Depth=2
	global_load_u8 v7, v[14:15], off
	v_mov_b32_e32 v17, s7
	s_wait_xcnt 0x0
	v_add_nc_u64_e32 v[14:15], 1, v[14:15]
	s_wait_loadcnt 0x0
	v_and_b32_e32 v16, 0xffff, v7
	s_delay_alu instid0(VALU_DEP_1) | instskip(SKIP_1) | instid1(SALU_CYCLE_1)
	v_lshlrev_b64_e32 v[16:17], s0, v[16:17]
	s_add_nc_u64 s[0:1], s[0:1], 8
	v_cmp_eq_u32_e32 vcc_lo, s0, v10
	s_delay_alu instid0(VALU_DEP_2) | instskip(NEXT) | instid1(VALU_DEP_3)
	v_or_b32_e32 v3, v17, v3
	v_or_b32_e32 v2, v16, v2
	s_or_b32 s11, vcc_lo, s11
	s_delay_alu instid0(SALU_CYCLE_1)
	s_and_not1_b32 exec_lo, exec_lo, s11
	s_cbranch_execnz .LBB3_6
; %bb.7:                                ;   in Loop: Header=BB3_3 Depth=1
	s_or_b32 exec_lo, exec_lo, s11
.LBB3_8:                                ;   in Loop: Header=BB3_3 Depth=1
	s_delay_alu instid0(SALU_CYCLE_1)
	s_or_b32 exec_lo, exec_lo, s5
	v_mov_b64_e32 v[16:17], v[8:9]
.LBB3_9:                                ;   in Loop: Header=BB3_3 Depth=1
	s_or_saveexec_b32 s0, s4
	v_mov_b32_e32 v7, 0
	s_xor_b32 exec_lo, exec_lo, s0
	s_cbranch_execz .LBB3_11
; %bb.10:                               ;   in Loop: Header=BB3_3 Depth=1
	s_wait_loadcnt 0x0
	global_load_b64 v[2:3], v[8:9], off
	v_add_nc_u32_e32 v7, -8, v32
.LBB3_11:                               ;   in Loop: Header=BB3_3 Depth=1
	s_wait_xcnt 0x0
	s_or_b32 exec_lo, exec_lo, s0
	v_add_nc_u64_e32 v[18:19], 8, v[16:17]
                                        ; implicit-def: $vgpr14_vgpr15
	s_mov_b32 s0, exec_lo
	v_cmpx_gt_u32_e32 8, v7
	s_xor_b32 s11, exec_lo, s0
	s_cbranch_execz .LBB3_17
; %bb.12:                               ;   in Loop: Header=BB3_3 Depth=1
	v_mov_b64_e32 v[14:15], 0
	s_mov_b32 s12, exec_lo
	v_cmpx_ne_u32_e32 0, v7
	s_cbranch_execz .LBB3_16
; %bb.13:                               ;   in Loop: Header=BB3_3 Depth=1
	v_mov_b64_e32 v[14:15], 0
	s_mov_b64 s[0:1], 0
	s_mov_b32 s13, 0
	s_mov_b64 s[4:5], 0
.LBB3_14:                               ;   Parent Loop BB3_3 Depth=1
                                        ; =>  This Inner Loop Header: Depth=2
	s_delay_alu instid0(SALU_CYCLE_1) | instskip(SKIP_1) | instid1(SALU_CYCLE_1)
	v_add_nc_u64_e32 v[18:19], s[4:5], v[16:17]
	s_add_nc_u64 s[4:5], s[4:5], 1
	v_cmp_eq_u32_e32 vcc_lo, s4, v7
	global_load_u8 v10, v[18:19], off
	s_wait_xcnt 0x0
	v_mov_b32_e32 v19, s7
	s_or_b32 s13, vcc_lo, s13
	s_wait_loadcnt 0x0
	v_and_b32_e32 v18, 0xffff, v10
	s_delay_alu instid0(VALU_DEP_1) | instskip(SKIP_1) | instid1(VALU_DEP_1)
	v_lshlrev_b64_e32 v[18:19], s0, v[18:19]
	s_add_nc_u64 s[0:1], s[0:1], 8
	v_or_b32_e32 v15, v19, v15
	s_delay_alu instid0(VALU_DEP_2)
	v_or_b32_e32 v14, v18, v14
	s_and_not1_b32 exec_lo, exec_lo, s13
	s_cbranch_execnz .LBB3_14
; %bb.15:                               ;   in Loop: Header=BB3_3 Depth=1
	s_or_b32 exec_lo, exec_lo, s13
.LBB3_16:                               ;   in Loop: Header=BB3_3 Depth=1
	s_delay_alu instid0(SALU_CYCLE_1)
	s_or_b32 exec_lo, exec_lo, s12
	v_mov_b64_e32 v[18:19], v[16:17]
                                        ; implicit-def: $vgpr7
.LBB3_17:                               ;   in Loop: Header=BB3_3 Depth=1
	s_or_saveexec_b32 s0, s11
	v_mov_b32_e32 v10, 0
	s_xor_b32 exec_lo, exec_lo, s0
	s_cbranch_execz .LBB3_19
; %bb.18:                               ;   in Loop: Header=BB3_3 Depth=1
	global_load_b64 v[14:15], v[16:17], off
	v_add_nc_u32_e32 v10, -8, v7
.LBB3_19:                               ;   in Loop: Header=BB3_3 Depth=1
	s_wait_xcnt 0x0
	s_or_b32 exec_lo, exec_lo, s0
	v_add_nc_u64_e32 v[20:21], 8, v[18:19]
	s_mov_b32 s0, exec_lo
	v_cmpx_gt_u32_e32 8, v10
	s_xor_b32 s11, exec_lo, s0
	s_cbranch_execz .LBB3_25
; %bb.20:                               ;   in Loop: Header=BB3_3 Depth=1
	v_mov_b64_e32 v[16:17], 0
	s_mov_b32 s12, exec_lo
	v_cmpx_ne_u32_e32 0, v10
	s_cbranch_execz .LBB3_24
; %bb.21:                               ;   in Loop: Header=BB3_3 Depth=1
	v_mov_b64_e32 v[16:17], 0
	s_mov_b64 s[0:1], 0
	s_mov_b32 s13, 0
	s_mov_b64 s[4:5], 0
.LBB3_22:                               ;   Parent Loop BB3_3 Depth=1
                                        ; =>  This Inner Loop Header: Depth=2
	s_delay_alu instid0(SALU_CYCLE_1) | instskip(SKIP_1) | instid1(SALU_CYCLE_1)
	v_add_nc_u64_e32 v[20:21], s[4:5], v[18:19]
	s_add_nc_u64 s[4:5], s[4:5], 1
	v_cmp_eq_u32_e32 vcc_lo, s4, v10
	global_load_u8 v7, v[20:21], off
	s_wait_xcnt 0x0
	v_mov_b32_e32 v21, s7
	s_or_b32 s13, vcc_lo, s13
	s_wait_loadcnt 0x0
	v_and_b32_e32 v20, 0xffff, v7
	s_delay_alu instid0(VALU_DEP_1) | instskip(SKIP_1) | instid1(VALU_DEP_1)
	v_lshlrev_b64_e32 v[20:21], s0, v[20:21]
	s_add_nc_u64 s[0:1], s[0:1], 8
	v_or_b32_e32 v17, v21, v17
	s_delay_alu instid0(VALU_DEP_2)
	v_or_b32_e32 v16, v20, v16
	s_and_not1_b32 exec_lo, exec_lo, s13
	s_cbranch_execnz .LBB3_22
; %bb.23:                               ;   in Loop: Header=BB3_3 Depth=1
	s_or_b32 exec_lo, exec_lo, s13
.LBB3_24:                               ;   in Loop: Header=BB3_3 Depth=1
	s_delay_alu instid0(SALU_CYCLE_1)
	s_or_b32 exec_lo, exec_lo, s12
	v_mov_b64_e32 v[20:21], v[18:19]
                                        ; implicit-def: $vgpr10
.LBB3_25:                               ;   in Loop: Header=BB3_3 Depth=1
	s_or_saveexec_b32 s0, s11
	v_mov_b32_e32 v7, 0
	s_xor_b32 exec_lo, exec_lo, s0
	s_cbranch_execz .LBB3_27
; %bb.26:                               ;   in Loop: Header=BB3_3 Depth=1
	global_load_b64 v[16:17], v[18:19], off
	v_add_nc_u32_e32 v7, -8, v10
.LBB3_27:                               ;   in Loop: Header=BB3_3 Depth=1
	s_wait_xcnt 0x0
	s_or_b32 exec_lo, exec_lo, s0
	v_add_nc_u64_e32 v[22:23], 8, v[20:21]
                                        ; implicit-def: $vgpr18_vgpr19
	s_mov_b32 s0, exec_lo
	v_cmpx_gt_u32_e32 8, v7
	s_xor_b32 s11, exec_lo, s0
	s_cbranch_execz .LBB3_33
; %bb.28:                               ;   in Loop: Header=BB3_3 Depth=1
	v_mov_b64_e32 v[18:19], 0
	s_mov_b32 s12, exec_lo
	v_cmpx_ne_u32_e32 0, v7
	s_cbranch_execz .LBB3_32
; %bb.29:                               ;   in Loop: Header=BB3_3 Depth=1
	v_mov_b64_e32 v[18:19], 0
	s_mov_b64 s[0:1], 0
	s_mov_b32 s13, 0
	s_mov_b64 s[4:5], 0
.LBB3_30:                               ;   Parent Loop BB3_3 Depth=1
                                        ; =>  This Inner Loop Header: Depth=2
	s_delay_alu instid0(SALU_CYCLE_1) | instskip(SKIP_1) | instid1(SALU_CYCLE_1)
	v_add_nc_u64_e32 v[22:23], s[4:5], v[20:21]
	s_add_nc_u64 s[4:5], s[4:5], 1
	v_cmp_eq_u32_e32 vcc_lo, s4, v7
	global_load_u8 v10, v[22:23], off
	s_wait_xcnt 0x0
	v_mov_b32_e32 v23, s7
	s_or_b32 s13, vcc_lo, s13
	s_wait_loadcnt 0x0
	v_and_b32_e32 v22, 0xffff, v10
	s_delay_alu instid0(VALU_DEP_1) | instskip(SKIP_1) | instid1(VALU_DEP_1)
	v_lshlrev_b64_e32 v[22:23], s0, v[22:23]
	s_add_nc_u64 s[0:1], s[0:1], 8
	v_or_b32_e32 v19, v23, v19
	s_delay_alu instid0(VALU_DEP_2)
	v_or_b32_e32 v18, v22, v18
	s_and_not1_b32 exec_lo, exec_lo, s13
	s_cbranch_execnz .LBB3_30
; %bb.31:                               ;   in Loop: Header=BB3_3 Depth=1
	s_or_b32 exec_lo, exec_lo, s13
.LBB3_32:                               ;   in Loop: Header=BB3_3 Depth=1
	s_delay_alu instid0(SALU_CYCLE_1)
	s_or_b32 exec_lo, exec_lo, s12
	v_mov_b64_e32 v[22:23], v[20:21]
                                        ; implicit-def: $vgpr7
.LBB3_33:                               ;   in Loop: Header=BB3_3 Depth=1
	s_or_saveexec_b32 s0, s11
	v_mov_b32_e32 v10, 0
	s_xor_b32 exec_lo, exec_lo, s0
	s_cbranch_execz .LBB3_35
; %bb.34:                               ;   in Loop: Header=BB3_3 Depth=1
	global_load_b64 v[18:19], v[20:21], off
	v_add_nc_u32_e32 v10, -8, v7
.LBB3_35:                               ;   in Loop: Header=BB3_3 Depth=1
	s_wait_xcnt 0x0
	s_or_b32 exec_lo, exec_lo, s0
	v_add_nc_u64_e32 v[24:25], 8, v[22:23]
	s_mov_b32 s0, exec_lo
	v_cmpx_gt_u32_e32 8, v10
	s_xor_b32 s11, exec_lo, s0
	s_cbranch_execz .LBB3_41
; %bb.36:                               ;   in Loop: Header=BB3_3 Depth=1
	v_mov_b64_e32 v[20:21], 0
	s_mov_b32 s12, exec_lo
	v_cmpx_ne_u32_e32 0, v10
	s_cbranch_execz .LBB3_40
; %bb.37:                               ;   in Loop: Header=BB3_3 Depth=1
	v_mov_b64_e32 v[20:21], 0
	s_mov_b64 s[0:1], 0
	s_mov_b32 s13, 0
	s_mov_b64 s[4:5], 0
.LBB3_38:                               ;   Parent Loop BB3_3 Depth=1
                                        ; =>  This Inner Loop Header: Depth=2
	s_delay_alu instid0(SALU_CYCLE_1) | instskip(SKIP_1) | instid1(SALU_CYCLE_1)
	v_add_nc_u64_e32 v[24:25], s[4:5], v[22:23]
	s_add_nc_u64 s[4:5], s[4:5], 1
	v_cmp_eq_u32_e32 vcc_lo, s4, v10
	global_load_u8 v7, v[24:25], off
	s_wait_xcnt 0x0
	v_mov_b32_e32 v25, s7
	s_or_b32 s13, vcc_lo, s13
	s_wait_loadcnt 0x0
	v_and_b32_e32 v24, 0xffff, v7
	s_delay_alu instid0(VALU_DEP_1) | instskip(SKIP_1) | instid1(VALU_DEP_1)
	v_lshlrev_b64_e32 v[24:25], s0, v[24:25]
	s_add_nc_u64 s[0:1], s[0:1], 8
	v_or_b32_e32 v21, v25, v21
	s_delay_alu instid0(VALU_DEP_2)
	v_or_b32_e32 v20, v24, v20
	s_and_not1_b32 exec_lo, exec_lo, s13
	s_cbranch_execnz .LBB3_38
; %bb.39:                               ;   in Loop: Header=BB3_3 Depth=1
	s_or_b32 exec_lo, exec_lo, s13
.LBB3_40:                               ;   in Loop: Header=BB3_3 Depth=1
	s_delay_alu instid0(SALU_CYCLE_1)
	s_or_b32 exec_lo, exec_lo, s12
	v_mov_b64_e32 v[24:25], v[22:23]
                                        ; implicit-def: $vgpr10
.LBB3_41:                               ;   in Loop: Header=BB3_3 Depth=1
	s_or_saveexec_b32 s0, s11
	v_mov_b32_e32 v7, 0
	s_xor_b32 exec_lo, exec_lo, s0
	s_cbranch_execz .LBB3_43
; %bb.42:                               ;   in Loop: Header=BB3_3 Depth=1
	global_load_b64 v[20:21], v[22:23], off
	v_add_nc_u32_e32 v7, -8, v10
.LBB3_43:                               ;   in Loop: Header=BB3_3 Depth=1
	s_wait_xcnt 0x0
	s_or_b32 exec_lo, exec_lo, s0
	v_add_nc_u64_e32 v[26:27], 8, v[24:25]
                                        ; implicit-def: $vgpr22_vgpr23
	s_mov_b32 s0, exec_lo
	v_cmpx_gt_u32_e32 8, v7
	s_xor_b32 s11, exec_lo, s0
	s_cbranch_execz .LBB3_49
; %bb.44:                               ;   in Loop: Header=BB3_3 Depth=1
	v_mov_b64_e32 v[22:23], 0
	s_mov_b32 s12, exec_lo
	v_cmpx_ne_u32_e32 0, v7
	s_cbranch_execz .LBB3_48
; %bb.45:                               ;   in Loop: Header=BB3_3 Depth=1
	v_mov_b64_e32 v[22:23], 0
	s_mov_b64 s[0:1], 0
	s_mov_b32 s13, 0
	s_mov_b64 s[4:5], 0
.LBB3_46:                               ;   Parent Loop BB3_3 Depth=1
                                        ; =>  This Inner Loop Header: Depth=2
	s_delay_alu instid0(SALU_CYCLE_1) | instskip(SKIP_1) | instid1(SALU_CYCLE_1)
	v_add_nc_u64_e32 v[26:27], s[4:5], v[24:25]
	s_add_nc_u64 s[4:5], s[4:5], 1
	v_cmp_eq_u32_e32 vcc_lo, s4, v7
	global_load_u8 v10, v[26:27], off
	s_wait_xcnt 0x0
	v_mov_b32_e32 v27, s7
	s_or_b32 s13, vcc_lo, s13
	s_wait_loadcnt 0x0
	v_and_b32_e32 v26, 0xffff, v10
	s_delay_alu instid0(VALU_DEP_1) | instskip(SKIP_1) | instid1(VALU_DEP_1)
	v_lshlrev_b64_e32 v[26:27], s0, v[26:27]
	s_add_nc_u64 s[0:1], s[0:1], 8
	v_or_b32_e32 v23, v27, v23
	s_delay_alu instid0(VALU_DEP_2)
	v_or_b32_e32 v22, v26, v22
	s_and_not1_b32 exec_lo, exec_lo, s13
	s_cbranch_execnz .LBB3_46
; %bb.47:                               ;   in Loop: Header=BB3_3 Depth=1
	s_or_b32 exec_lo, exec_lo, s13
.LBB3_48:                               ;   in Loop: Header=BB3_3 Depth=1
	s_delay_alu instid0(SALU_CYCLE_1)
	s_or_b32 exec_lo, exec_lo, s12
	v_mov_b64_e32 v[26:27], v[24:25]
                                        ; implicit-def: $vgpr7
.LBB3_49:                               ;   in Loop: Header=BB3_3 Depth=1
	s_or_saveexec_b32 s0, s11
	v_mov_b32_e32 v10, 0
	s_xor_b32 exec_lo, exec_lo, s0
	s_cbranch_execz .LBB3_51
; %bb.50:                               ;   in Loop: Header=BB3_3 Depth=1
	global_load_b64 v[22:23], v[24:25], off
	v_add_nc_u32_e32 v10, -8, v7
.LBB3_51:                               ;   in Loop: Header=BB3_3 Depth=1
	s_wait_xcnt 0x0
	s_or_b32 exec_lo, exec_lo, s0
	s_delay_alu instid0(SALU_CYCLE_1) | instskip(NEXT) | instid1(VALU_DEP_1)
	s_mov_b32 s0, exec_lo
	v_cmpx_gt_u32_e32 8, v10
	s_xor_b32 s4, exec_lo, s0
	s_cbranch_execz .LBB3_57
; %bb.52:                               ;   in Loop: Header=BB3_3 Depth=1
	v_mov_b64_e32 v[24:25], 0
	s_mov_b32 s5, exec_lo
	v_cmpx_ne_u32_e32 0, v10
	s_cbranch_execz .LBB3_56
; %bb.53:                               ;   in Loop: Header=BB3_3 Depth=1
	v_mov_b64_e32 v[24:25], 0
	s_mov_b64 s[0:1], 0
	s_mov_b32 s11, 0
.LBB3_54:                               ;   Parent Loop BB3_3 Depth=1
                                        ; =>  This Inner Loop Header: Depth=2
	global_load_u8 v7, v[26:27], off
	v_dual_mov_b32 v29, s7 :: v_dual_add_nc_u32 v10, -1, v10
	s_wait_xcnt 0x0
	v_add_nc_u64_e32 v[26:27], 1, v[26:27]
	s_delay_alu instid0(VALU_DEP_2) | instskip(SKIP_3) | instid1(VALU_DEP_1)
	v_cmp_eq_u32_e32 vcc_lo, 0, v10
	s_or_b32 s11, vcc_lo, s11
	s_wait_loadcnt 0x0
	v_and_b32_e32 v28, 0xffff, v7
	v_lshlrev_b64_e32 v[28:29], s0, v[28:29]
	s_add_nc_u64 s[0:1], s[0:1], 8
	s_delay_alu instid0(VALU_DEP_1) | instskip(NEXT) | instid1(VALU_DEP_2)
	v_or_b32_e32 v25, v29, v25
	v_or_b32_e32 v24, v28, v24
	s_and_not1_b32 exec_lo, exec_lo, s11
	s_cbranch_execnz .LBB3_54
; %bb.55:                               ;   in Loop: Header=BB3_3 Depth=1
	s_or_b32 exec_lo, exec_lo, s11
.LBB3_56:                               ;   in Loop: Header=BB3_3 Depth=1
	s_delay_alu instid0(SALU_CYCLE_1)
	s_or_b32 exec_lo, exec_lo, s5
                                        ; implicit-def: $vgpr26_vgpr27
.LBB3_57:                               ;   in Loop: Header=BB3_3 Depth=1
	s_and_not1_saveexec_b32 s0, s4
	s_cbranch_execz .LBB3_59
; %bb.58:                               ;   in Loop: Header=BB3_3 Depth=1
	global_load_b64 v[24:25], v[26:27], off
.LBB3_59:                               ;   in Loop: Header=BB3_3 Depth=1
	s_wait_xcnt 0x0
	s_or_b32 exec_lo, exec_lo, s0
	v_readfirstlane_b32 s0, v30
	v_mov_b64_e32 v[34:35], 0
	s_delay_alu instid0(VALU_DEP_2)
	v_cmp_eq_u32_e64 s0, s0, v30
	s_and_saveexec_b32 s1, s0
	s_cbranch_execz .LBB3_65
; %bb.60:                               ;   in Loop: Header=BB3_3 Depth=1
	s_wait_kmcnt 0x0
	global_load_b64 v[28:29], v11, s[2:3] offset:24 scope:SCOPE_SYS
	s_wait_loadcnt 0x0
	global_inv scope:SCOPE_SYS
	s_clause 0x1
	global_load_b64 v[26:27], v11, s[2:3] offset:40
	global_load_b64 v[34:35], v11, s[2:3]
	s_mov_b32 s4, exec_lo
	s_wait_loadcnt 0x1
	v_and_b32_e32 v26, v26, v28
	v_and_b32_e32 v27, v27, v29
	s_delay_alu instid0(VALU_DEP_1) | instskip(SKIP_1) | instid1(VALU_DEP_1)
	v_mul_u64_e32 v[26:27], 24, v[26:27]
	s_wait_loadcnt 0x0
	v_add_nc_u64_e32 v[26:27], v[34:35], v[26:27]
	global_load_b64 v[26:27], v[26:27], off scope:SCOPE_SYS
	s_wait_xcnt 0x0
	s_wait_loadcnt 0x0
	global_atomic_cmpswap_b64 v[34:35], v11, v[26:29], s[2:3] offset:24 th:TH_ATOMIC_RETURN scope:SCOPE_SYS
	s_wait_loadcnt 0x0
	global_inv scope:SCOPE_SYS
	s_wait_xcnt 0x0
	v_cmpx_ne_u64_e64 v[34:35], v[28:29]
	s_cbranch_execz .LBB3_64
; %bb.61:                               ;   in Loop: Header=BB3_3 Depth=1
	s_mov_b32 s5, 0
.LBB3_62:                               ;   Parent Loop BB3_3 Depth=1
                                        ; =>  This Inner Loop Header: Depth=2
	s_sleep 1
	s_clause 0x1
	global_load_b64 v[26:27], v11, s[2:3] offset:40
	global_load_b64 v[36:37], v11, s[2:3]
	v_mov_b64_e32 v[28:29], v[34:35]
	s_wait_loadcnt 0x1
	s_delay_alu instid0(VALU_DEP_1) | instskip(SKIP_1) | instid1(VALU_DEP_1)
	v_and_b32_e32 v7, v26, v28
	s_wait_loadcnt 0x0
	v_mad_nc_u64_u32 v[34:35], v7, 24, v[36:37]
	s_delay_alu instid0(VALU_DEP_3) | instskip(NEXT) | instid1(VALU_DEP_1)
	v_and_b32_e32 v7, v27, v29
	v_mad_u32 v35, v7, 24, v35
	global_load_b64 v[26:27], v[34:35], off scope:SCOPE_SYS
	s_wait_xcnt 0x0
	s_wait_loadcnt 0x0
	global_atomic_cmpswap_b64 v[34:35], v11, v[26:29], s[2:3] offset:24 th:TH_ATOMIC_RETURN scope:SCOPE_SYS
	s_wait_loadcnt 0x0
	global_inv scope:SCOPE_SYS
	v_cmp_eq_u64_e32 vcc_lo, v[34:35], v[28:29]
	s_or_b32 s5, vcc_lo, s5
	s_wait_xcnt 0x0
	s_and_not1_b32 exec_lo, exec_lo, s5
	s_cbranch_execnz .LBB3_62
; %bb.63:                               ;   in Loop: Header=BB3_3 Depth=1
	s_or_b32 exec_lo, exec_lo, s5
.LBB3_64:                               ;   in Loop: Header=BB3_3 Depth=1
	s_delay_alu instid0(SALU_CYCLE_1)
	s_or_b32 exec_lo, exec_lo, s4
.LBB3_65:                               ;   in Loop: Header=BB3_3 Depth=1
	s_delay_alu instid0(SALU_CYCLE_1)
	s_or_b32 exec_lo, exec_lo, s1
	s_wait_kmcnt 0x0
	s_clause 0x1
	global_load_b64 v[36:37], v11, s[2:3] offset:40
	global_load_b128 v[26:29], v11, s[2:3]
	v_readfirstlane_b32 s4, v34
	v_readfirstlane_b32 s5, v35
	s_mov_b32 s1, exec_lo
	s_wait_loadcnt 0x1
	v_and_b32_e32 v36, s4, v36
	v_and_b32_e32 v37, s5, v37
	s_delay_alu instid0(VALU_DEP_1) | instskip(SKIP_1) | instid1(VALU_DEP_1)
	v_mul_u64_e32 v[34:35], 24, v[36:37]
	s_wait_loadcnt 0x0
	v_add_nc_u64_e32 v[34:35], v[26:27], v[34:35]
	s_wait_xcnt 0x0
	s_and_saveexec_b32 s11, s0
	s_cbranch_execz .LBB3_67
; %bb.66:                               ;   in Loop: Header=BB3_3 Depth=1
	v_mov_b32_e32 v10, s1
	global_store_b128 v[34:35], v[10:13], off offset:8
.LBB3_67:                               ;   in Loop: Header=BB3_3 Depth=1
	s_wait_xcnt 0x0
	s_or_b32 exec_lo, exec_lo, s11
	v_cmp_gt_u64_e32 vcc_lo, 57, v[4:5]
	v_lshlrev_b64_e32 v[36:37], 12, v[36:37]
	v_and_b32_e32 v0, 0xffffff1f, v0
	v_lshl_add_u32 v31, v32, 2, 28
	v_lshlrev_b32_e32 v10, 6, v30
	v_cndmask_b32_e32 v7, 0, v6, vcc_lo
	v_add_nc_u64_e32 v[28:29], v[28:29], v[36:37]
	s_delay_alu instid0(VALU_DEP_2) | instskip(NEXT) | instid1(VALU_DEP_2)
	v_or_b32_e32 v0, v0, v7
	v_readfirstlane_b32 s12, v28
	s_delay_alu instid0(VALU_DEP_3) | instskip(NEXT) | instid1(VALU_DEP_3)
	v_readfirstlane_b32 s13, v29
	v_and_or_b32 v0, 0x1e0, v31, v0
	s_clause 0x3
	global_store_b128 v10, v[0:3], s[12:13]
	global_store_b128 v10, v[14:17], s[12:13] offset:16
	global_store_b128 v10, v[18:21], s[12:13] offset:32
	;; [unrolled: 1-line block ×3, first 2 shown]
	s_wait_xcnt 0x0
	s_and_saveexec_b32 s1, s0
	s_cbranch_execz .LBB3_75
; %bb.68:                               ;   in Loop: Header=BB3_3 Depth=1
	s_clause 0x1
	global_load_b64 v[18:19], v11, s[2:3] offset:32 scope:SCOPE_SYS
	global_load_b64 v[0:1], v11, s[2:3] offset:40
	s_mov_b32 s11, exec_lo
	v_dual_mov_b32 v16, s4 :: v_dual_mov_b32 v17, s5
	s_wait_loadcnt 0x0
	v_and_b32_e32 v1, s5, v1
	v_and_b32_e32 v0, s4, v0
	s_delay_alu instid0(VALU_DEP_1) | instskip(NEXT) | instid1(VALU_DEP_1)
	v_mul_u64_e32 v[0:1], 24, v[0:1]
	v_add_nc_u64_e32 v[14:15], v[26:27], v[0:1]
	global_store_b64 v[14:15], v[18:19], off
	global_wb scope:SCOPE_SYS
	s_wait_storecnt 0x0
	s_wait_xcnt 0x0
	global_atomic_cmpswap_b64 v[2:3], v11, v[16:19], s[2:3] offset:32 th:TH_ATOMIC_RETURN scope:SCOPE_SYS
	s_wait_loadcnt 0x0
	v_cmpx_ne_u64_e64 v[2:3], v[18:19]
	s_cbranch_execz .LBB3_71
; %bb.69:                               ;   in Loop: Header=BB3_3 Depth=1
	s_mov_b32 s12, 0
.LBB3_70:                               ;   Parent Loop BB3_3 Depth=1
                                        ; =>  This Inner Loop Header: Depth=2
	v_dual_mov_b32 v0, s4 :: v_dual_mov_b32 v1, s5
	s_sleep 1
	global_store_b64 v[14:15], v[2:3], off
	global_wb scope:SCOPE_SYS
	s_wait_storecnt 0x0
	s_wait_xcnt 0x0
	global_atomic_cmpswap_b64 v[0:1], v11, v[0:3], s[2:3] offset:32 th:TH_ATOMIC_RETURN scope:SCOPE_SYS
	s_wait_loadcnt 0x0
	v_cmp_eq_u64_e32 vcc_lo, v[0:1], v[2:3]
	v_mov_b64_e32 v[2:3], v[0:1]
	s_or_b32 s12, vcc_lo, s12
	s_delay_alu instid0(SALU_CYCLE_1)
	s_and_not1_b32 exec_lo, exec_lo, s12
	s_cbranch_execnz .LBB3_70
.LBB3_71:                               ;   in Loop: Header=BB3_3 Depth=1
	s_or_b32 exec_lo, exec_lo, s11
	global_load_b64 v[0:1], v11, s[2:3] offset:16
	s_mov_b32 s12, exec_lo
	s_mov_b32 s11, exec_lo
	v_mbcnt_lo_u32_b32 v2, s12, 0
	s_wait_xcnt 0x0
	s_delay_alu instid0(VALU_DEP_1)
	v_cmpx_eq_u32_e32 0, v2
	s_cbranch_execz .LBB3_73
; %bb.72:                               ;   in Loop: Header=BB3_3 Depth=1
	s_bcnt1_i32_b32 s12, s12
	s_delay_alu instid0(SALU_CYCLE_1)
	v_dual_mov_b32 v3, v11 :: v_dual_mov_b32 v2, s12
	global_wb scope:SCOPE_SYS
	s_wait_loadcnt 0x0
	s_wait_storecnt 0x0
	global_atomic_add_u64 v[0:1], v[2:3], off offset:8 scope:SCOPE_SYS
.LBB3_73:                               ;   in Loop: Header=BB3_3 Depth=1
	s_wait_xcnt 0x0
	s_or_b32 exec_lo, exec_lo, s11
	s_wait_loadcnt 0x0
	global_load_b64 v[2:3], v[0:1], off offset:16
	s_wait_loadcnt 0x0
	v_cmp_eq_u64_e32 vcc_lo, 0, v[2:3]
	s_cbranch_vccnz .LBB3_75
; %bb.74:                               ;   in Loop: Header=BB3_3 Depth=1
	global_load_b32 v0, v[0:1], off offset:24
	s_wait_xcnt 0x0
	v_mov_b32_e32 v1, v11
	s_wait_loadcnt 0x0
	v_readfirstlane_b32 s11, v0
	global_wb scope:SCOPE_SYS
	s_wait_storecnt 0x0
	global_store_b64 v[2:3], v[0:1], off scope:SCOPE_SYS
	s_and_b32 m0, s11, 0xffffff
	s_sendmsg sendmsg(MSG_INTERRUPT)
.LBB3_75:                               ;   in Loop: Header=BB3_3 Depth=1
	s_wait_xcnt 0x0
	s_or_b32 exec_lo, exec_lo, s1
	v_add_nc_u64_e32 v[0:1], v[28:29], v[10:11]
	s_branch .LBB3_79
.LBB3_76:                               ;   in Loop: Header=BB3_79 Depth=2
	s_wait_xcnt 0x0
	s_or_b32 exec_lo, exec_lo, s1
	s_delay_alu instid0(VALU_DEP_1)
	v_readfirstlane_b32 s1, v2
	s_cmp_eq_u32 s1, 0
	s_cbranch_scc1 .LBB3_78
; %bb.77:                               ;   in Loop: Header=BB3_79 Depth=2
	s_sleep 1
	s_cbranch_execnz .LBB3_79
	s_branch .LBB3_81
.LBB3_78:                               ;   in Loop: Header=BB3_3 Depth=1
	s_branch .LBB3_81
.LBB3_79:                               ;   Parent Loop BB3_3 Depth=1
                                        ; =>  This Inner Loop Header: Depth=2
	v_mov_b32_e32 v2, 1
	s_and_saveexec_b32 s1, s0
	s_cbranch_execz .LBB3_76
; %bb.80:                               ;   in Loop: Header=BB3_79 Depth=2
	global_load_b32 v2, v[34:35], off offset:20 scope:SCOPE_SYS
	s_wait_loadcnt 0x0
	global_inv scope:SCOPE_SYS
	v_and_b32_e32 v2, 1, v2
	s_branch .LBB3_76
.LBB3_81:                               ;   in Loop: Header=BB3_3 Depth=1
	global_load_b128 v[0:3], v[0:1], off
	s_wait_xcnt 0x0
	s_and_saveexec_b32 s11, s0
	s_cbranch_execz .LBB3_2
; %bb.82:                               ;   in Loop: Header=BB3_3 Depth=1
	s_wait_loadcnt 0x0
	s_clause 0x2
	global_load_b64 v[2:3], v11, s[2:3] offset:40
	global_load_b64 v[18:19], v11, s[2:3] offset:24 scope:SCOPE_SYS
	global_load_b64 v[14:15], v11, s[2:3]
	s_wait_loadcnt 0x2
	v_readfirstlane_b32 s12, v2
	v_readfirstlane_b32 s13, v3
	s_add_nc_u64 s[0:1], s[12:13], 1
	s_delay_alu instid0(SALU_CYCLE_1) | instskip(NEXT) | instid1(SALU_CYCLE_1)
	s_add_nc_u64 s[4:5], s[0:1], s[4:5]
	s_cmp_eq_u64 s[4:5], 0
	s_cselect_b32 s1, s1, s5
	s_cselect_b32 s0, s0, s4
	s_delay_alu instid0(SALU_CYCLE_1) | instskip(SKIP_1) | instid1(SALU_CYCLE_1)
	v_dual_mov_b32 v17, s1 :: v_dual_mov_b32 v16, s0
	s_and_b64 s[4:5], s[0:1], s[12:13]
	s_mul_u64 s[4:5], s[4:5], 24
	s_wait_loadcnt 0x0
	v_add_nc_u64_e32 v[2:3], s[4:5], v[14:15]
	global_store_b64 v[2:3], v[18:19], off
	global_wb scope:SCOPE_SYS
	s_wait_storecnt 0x0
	s_wait_xcnt 0x0
	global_atomic_cmpswap_b64 v[16:17], v11, v[16:19], s[2:3] offset:24 th:TH_ATOMIC_RETURN scope:SCOPE_SYS
	s_wait_loadcnt 0x0
	v_cmp_ne_u64_e32 vcc_lo, v[16:17], v[18:19]
	s_and_b32 exec_lo, exec_lo, vcc_lo
	s_cbranch_execz .LBB3_2
; %bb.83:                               ;   in Loop: Header=BB3_3 Depth=1
	s_mov_b32 s4, 0
.LBB3_84:                               ;   Parent Loop BB3_3 Depth=1
                                        ; =>  This Inner Loop Header: Depth=2
	v_dual_mov_b32 v14, s0 :: v_dual_mov_b32 v15, s1
	s_sleep 1
	global_store_b64 v[2:3], v[16:17], off
	global_wb scope:SCOPE_SYS
	s_wait_storecnt 0x0
	s_wait_xcnt 0x0
	global_atomic_cmpswap_b64 v[14:15], v11, v[14:17], s[2:3] offset:24 th:TH_ATOMIC_RETURN scope:SCOPE_SYS
	s_wait_loadcnt 0x0
	v_cmp_eq_u64_e32 vcc_lo, v[14:15], v[16:17]
	v_mov_b64_e32 v[16:17], v[14:15]
	s_or_b32 s4, vcc_lo, s4
	s_delay_alu instid0(SALU_CYCLE_1)
	s_and_not1_b32 exec_lo, exec_lo, s4
	s_cbranch_execnz .LBB3_84
	s_branch .LBB3_2
.LBB3_85:
	s_or_b32 exec_lo, exec_lo, s10
                                        ; implicit-def: $vgpr0
                                        ; implicit-def: $vgpr30
                                        ; implicit-def: $vgpr1
.LBB3_86:
	s_and_not1_saveexec_b32 s6, s6
	s_cbranch_execz .LBB3_108
; %bb.87:
	s_load_b64 s[2:3], s[8:9], 0x50
	v_readfirstlane_b32 s0, v30
	v_mov_b64_e32 v[8:9], 0
	s_delay_alu instid0(VALU_DEP_2)
	v_cmp_eq_u32_e64 s0, s0, v30
	s_and_saveexec_b32 s1, s0
	s_cbranch_execz .LBB3_93
; %bb.88:
	s_wait_loadcnt 0x0
	v_mov_b32_e32 v2, 0
	s_mov_b32 s4, exec_lo
	s_wait_kmcnt 0x0
	global_load_b64 v[6:7], v2, s[2:3] offset:24 scope:SCOPE_SYS
	s_wait_loadcnt 0x0
	global_inv scope:SCOPE_SYS
	s_clause 0x1
	global_load_b64 v[4:5], v2, s[2:3] offset:40
	global_load_b64 v[8:9], v2, s[2:3]
	s_wait_loadcnt 0x1
	v_and_b32_e32 v4, v4, v6
	v_and_b32_e32 v5, v5, v7
	s_delay_alu instid0(VALU_DEP_1) | instskip(SKIP_1) | instid1(VALU_DEP_1)
	v_mul_u64_e32 v[4:5], 24, v[4:5]
	s_wait_loadcnt 0x0
	v_add_nc_u64_e32 v[4:5], v[8:9], v[4:5]
	global_load_b64 v[4:5], v[4:5], off scope:SCOPE_SYS
	s_wait_xcnt 0x0
	s_wait_loadcnt 0x0
	global_atomic_cmpswap_b64 v[8:9], v2, v[4:7], s[2:3] offset:24 th:TH_ATOMIC_RETURN scope:SCOPE_SYS
	s_wait_loadcnt 0x0
	global_inv scope:SCOPE_SYS
	s_wait_xcnt 0x0
	v_cmpx_ne_u64_e64 v[8:9], v[6:7]
	s_cbranch_execz .LBB3_92
; %bb.89:
	s_mov_b32 s5, 0
.LBB3_90:                               ; =>This Inner Loop Header: Depth=1
	s_sleep 1
	s_clause 0x1
	global_load_b64 v[4:5], v2, s[2:3] offset:40
	global_load_b64 v[10:11], v2, s[2:3]
	v_mov_b64_e32 v[6:7], v[8:9]
	s_wait_loadcnt 0x1
	s_delay_alu instid0(VALU_DEP_1) | instskip(SKIP_1) | instid1(VALU_DEP_1)
	v_and_b32_e32 v3, v4, v6
	s_wait_loadcnt 0x0
	v_mad_nc_u64_u32 v[8:9], v3, 24, v[10:11]
	s_delay_alu instid0(VALU_DEP_3) | instskip(NEXT) | instid1(VALU_DEP_1)
	v_and_b32_e32 v3, v5, v7
	v_mad_u32 v9, v3, 24, v9
	global_load_b64 v[4:5], v[8:9], off scope:SCOPE_SYS
	s_wait_xcnt 0x0
	s_wait_loadcnt 0x0
	global_atomic_cmpswap_b64 v[8:9], v2, v[4:7], s[2:3] offset:24 th:TH_ATOMIC_RETURN scope:SCOPE_SYS
	s_wait_loadcnt 0x0
	global_inv scope:SCOPE_SYS
	v_cmp_eq_u64_e32 vcc_lo, v[8:9], v[6:7]
	s_or_b32 s5, vcc_lo, s5
	s_wait_xcnt 0x0
	s_and_not1_b32 exec_lo, exec_lo, s5
	s_cbranch_execnz .LBB3_90
; %bb.91:
	s_or_b32 exec_lo, exec_lo, s5
.LBB3_92:
	s_delay_alu instid0(SALU_CYCLE_1)
	s_or_b32 exec_lo, exec_lo, s4
.LBB3_93:
	s_delay_alu instid0(SALU_CYCLE_1)
	s_or_b32 exec_lo, exec_lo, s1
	v_readfirstlane_b32 s4, v8
	s_wait_loadcnt 0x0
	v_mov_b32_e32 v2, 0
	v_readfirstlane_b32 s5, v9
	s_mov_b32 s1, exec_lo
	s_wait_kmcnt 0x0
	s_clause 0x1
	global_load_b64 v[10:11], v2, s[2:3] offset:40
	global_load_b128 v[4:7], v2, s[2:3]
	s_wait_loadcnt 0x1
	v_and_b32_e32 v10, s4, v10
	v_and_b32_e32 v11, s5, v11
	s_delay_alu instid0(VALU_DEP_1) | instskip(SKIP_1) | instid1(VALU_DEP_1)
	v_mul_u64_e32 v[8:9], 24, v[10:11]
	s_wait_loadcnt 0x0
	v_add_nc_u64_e32 v[8:9], v[4:5], v[8:9]
	s_wait_xcnt 0x0
	s_and_saveexec_b32 s7, s0
	s_cbranch_execz .LBB3_95
; %bb.94:
	v_mov_b64_e32 v[14:15], 0x100000002
	v_dual_mov_b32 v12, s1 :: v_dual_mov_b32 v13, v2
	global_store_b128 v[8:9], v[12:15], off offset:8
.LBB3_95:
	s_wait_xcnt 0x0
	s_or_b32 exec_lo, exec_lo, s7
	v_lshlrev_b64_e32 v[10:11], 12, v[10:11]
	s_mov_b32 s8, 0
	v_and_or_b32 v0, 0xffffff1f, v0, 32
	s_mov_b32 s10, s8
	s_mov_b32 s11, s8
	;; [unrolled: 1-line block ×3, first 2 shown]
	v_dual_mov_b32 v3, v2 :: v_dual_lshlrev_b32 v14, 6, v30
	v_add_nc_u64_e32 v[6:7], v[6:7], v[10:11]
	v_mov_b64_e32 v[12:13], s[10:11]
	v_mov_b64_e32 v[10:11], s[8:9]
	s_delay_alu instid0(VALU_DEP_3) | instskip(NEXT) | instid1(VALU_DEP_4)
	v_readfirstlane_b32 s12, v6
	v_readfirstlane_b32 s13, v7
	s_clause 0x3
	global_store_b128 v14, v[0:3], s[12:13]
	global_store_b128 v14, v[10:13], s[12:13] offset:16
	global_store_b128 v14, v[10:13], s[12:13] offset:32
	;; [unrolled: 1-line block ×3, first 2 shown]
	s_wait_xcnt 0x0
	s_and_saveexec_b32 s1, s0
	s_cbranch_execz .LBB3_102
; %bb.96:
	v_dual_mov_b32 v6, 0 :: v_dual_mov_b32 v11, s5
	s_mov_b32 s7, exec_lo
	s_clause 0x1
	global_load_b64 v[12:13], v6, s[2:3] offset:32 scope:SCOPE_SYS
	global_load_b64 v[0:1], v6, s[2:3] offset:40
	s_wait_loadcnt 0x0
	v_dual_mov_b32 v10, s4 :: v_dual_bitop2_b32 v1, s5, v1 bitop3:0x40
	v_and_b32_e32 v0, s4, v0
	s_delay_alu instid0(VALU_DEP_1) | instskip(NEXT) | instid1(VALU_DEP_1)
	v_mul_u64_e32 v[0:1], 24, v[0:1]
	v_add_nc_u64_e32 v[4:5], v[4:5], v[0:1]
	global_store_b64 v[4:5], v[12:13], off
	global_wb scope:SCOPE_SYS
	s_wait_storecnt 0x0
	s_wait_xcnt 0x0
	global_atomic_cmpswap_b64 v[2:3], v6, v[10:13], s[2:3] offset:32 th:TH_ATOMIC_RETURN scope:SCOPE_SYS
	s_wait_loadcnt 0x0
	v_cmpx_ne_u64_e64 v[2:3], v[12:13]
	s_cbranch_execz .LBB3_98
.LBB3_97:                               ; =>This Inner Loop Header: Depth=1
	v_dual_mov_b32 v0, s4 :: v_dual_mov_b32 v1, s5
	s_sleep 1
	global_store_b64 v[4:5], v[2:3], off
	global_wb scope:SCOPE_SYS
	s_wait_storecnt 0x0
	s_wait_xcnt 0x0
	global_atomic_cmpswap_b64 v[0:1], v6, v[0:3], s[2:3] offset:32 th:TH_ATOMIC_RETURN scope:SCOPE_SYS
	s_wait_loadcnt 0x0
	v_cmp_eq_u64_e32 vcc_lo, v[0:1], v[2:3]
	v_mov_b64_e32 v[2:3], v[0:1]
	s_or_b32 s8, vcc_lo, s8
	s_delay_alu instid0(SALU_CYCLE_1)
	s_and_not1_b32 exec_lo, exec_lo, s8
	s_cbranch_execnz .LBB3_97
.LBB3_98:
	s_or_b32 exec_lo, exec_lo, s7
	v_mov_b32_e32 v3, 0
	s_mov_b32 s8, exec_lo
	s_mov_b32 s7, exec_lo
	v_mbcnt_lo_u32_b32 v2, s8, 0
	global_load_b64 v[0:1], v3, s[2:3] offset:16
	s_wait_xcnt 0x0
	v_cmpx_eq_u32_e32 0, v2
	s_cbranch_execz .LBB3_100
; %bb.99:
	s_bcnt1_i32_b32 s8, s8
	s_delay_alu instid0(SALU_CYCLE_1)
	v_mov_b32_e32 v2, s8
	global_wb scope:SCOPE_SYS
	s_wait_loadcnt 0x0
	s_wait_storecnt 0x0
	global_atomic_add_u64 v[0:1], v[2:3], off offset:8 scope:SCOPE_SYS
.LBB3_100:
	s_wait_xcnt 0x0
	s_or_b32 exec_lo, exec_lo, s7
	s_wait_loadcnt 0x0
	global_load_b64 v[2:3], v[0:1], off offset:16
	s_wait_loadcnt 0x0
	v_cmp_eq_u64_e32 vcc_lo, 0, v[2:3]
	s_cbranch_vccnz .LBB3_102
; %bb.101:
	global_load_b32 v0, v[0:1], off offset:24
	s_wait_xcnt 0x0
	v_mov_b32_e32 v1, 0
	s_wait_loadcnt 0x0
	v_readfirstlane_b32 s7, v0
	global_wb scope:SCOPE_SYS
	s_wait_storecnt 0x0
	global_store_b64 v[2:3], v[0:1], off scope:SCOPE_SYS
	s_and_b32 m0, s7, 0xffffff
	s_sendmsg sendmsg(MSG_INTERRUPT)
.LBB3_102:
	s_wait_xcnt 0x0
	s_or_b32 exec_lo, exec_lo, s1
	s_branch .LBB3_106
.LBB3_103:                              ;   in Loop: Header=BB3_106 Depth=1
	s_wait_xcnt 0x0
	s_or_b32 exec_lo, exec_lo, s1
	s_delay_alu instid0(VALU_DEP_1)
	v_readfirstlane_b32 s1, v0
	s_cmp_eq_u32 s1, 0
	s_cbranch_scc1 .LBB3_105
; %bb.104:                              ;   in Loop: Header=BB3_106 Depth=1
	s_sleep 1
	s_cbranch_execnz .LBB3_106
	s_branch .LBB3_109
.LBB3_105:
	s_branch .LBB3_109
.LBB3_106:                              ; =>This Inner Loop Header: Depth=1
	v_mov_b32_e32 v0, 1
	s_and_saveexec_b32 s1, s0
	s_cbranch_execz .LBB3_103
; %bb.107:                              ;   in Loop: Header=BB3_106 Depth=1
	global_load_b32 v0, v[8:9], off offset:20 scope:SCOPE_SYS
	s_wait_loadcnt 0x0
	global_inv scope:SCOPE_SYS
	v_and_b32_e32 v0, 1, v0
	s_branch .LBB3_103
.LBB3_108:
	s_or_b32 exec_lo, exec_lo, s6
	s_wait_loadcnt 0x0
	s_wait_kmcnt 0x0
	s_set_pc_i64 s[30:31]
.LBB3_109:
	s_and_saveexec_b32 s7, s0
	s_cbranch_execz .LBB3_113
; %bb.110:
	v_mov_b32_e32 v6, 0
	s_clause 0x2
	global_load_b64 v[0:1], v6, s[2:3] offset:40
	global_load_b64 v[10:11], v6, s[2:3] offset:24 scope:SCOPE_SYS
	global_load_b64 v[2:3], v6, s[2:3]
	s_wait_loadcnt 0x2
	v_readfirstlane_b32 s8, v0
	v_readfirstlane_b32 s9, v1
	s_add_nc_u64 s[0:1], s[8:9], 1
	s_delay_alu instid0(SALU_CYCLE_1) | instskip(NEXT) | instid1(SALU_CYCLE_1)
	s_add_nc_u64 s[4:5], s[0:1], s[4:5]
	s_cmp_eq_u64 s[4:5], 0
	s_cselect_b32 s1, s1, s5
	s_cselect_b32 s0, s0, s4
	v_mov_b32_e32 v9, s1
	s_and_b64 s[4:5], s[0:1], s[8:9]
	v_mov_b32_e32 v8, s0
	s_mul_u64 s[4:5], s[4:5], 24
	s_wait_loadcnt 0x0
	v_add_nc_u64_e32 v[4:5], s[4:5], v[2:3]
	global_store_b64 v[4:5], v[10:11], off
	global_wb scope:SCOPE_SYS
	s_wait_storecnt 0x0
	s_wait_xcnt 0x0
	global_atomic_cmpswap_b64 v[2:3], v6, v[8:11], s[2:3] offset:24 th:TH_ATOMIC_RETURN scope:SCOPE_SYS
	s_wait_loadcnt 0x0
	v_cmp_ne_u64_e32 vcc_lo, v[2:3], v[10:11]
	s_and_b32 exec_lo, exec_lo, vcc_lo
	s_cbranch_execz .LBB3_113
; %bb.111:
	s_mov_b32 s4, 0
.LBB3_112:                              ; =>This Inner Loop Header: Depth=1
	v_dual_mov_b32 v0, s0 :: v_dual_mov_b32 v1, s1
	s_sleep 1
	global_store_b64 v[4:5], v[2:3], off
	global_wb scope:SCOPE_SYS
	s_wait_storecnt 0x0
	s_wait_xcnt 0x0
	global_atomic_cmpswap_b64 v[0:1], v6, v[0:3], s[2:3] offset:24 th:TH_ATOMIC_RETURN scope:SCOPE_SYS
	s_wait_loadcnt 0x0
	v_cmp_eq_u64_e32 vcc_lo, v[0:1], v[2:3]
	v_mov_b64_e32 v[2:3], v[0:1]
	s_or_b32 s4, vcc_lo, s4
	s_delay_alu instid0(SALU_CYCLE_1)
	s_and_not1_b32 exec_lo, exec_lo, s4
	s_cbranch_execnz .LBB3_112
.LBB3_113:
	s_or_b32 exec_lo, exec_lo, s7
	s_delay_alu instid0(SALU_CYCLE_1)
	s_or_b32 exec_lo, exec_lo, s6
	s_wait_loadcnt 0x0
	s_wait_kmcnt 0x0
	s_set_pc_i64 s[30:31]
.Lfunc_end3:
	.size	__ockl_fprintf_append_string_n, .Lfunc_end3-__ockl_fprintf_append_string_n
                                        ; -- End function
	.set .L__ockl_fprintf_append_string_n.num_vgpr, 38
	.set .L__ockl_fprintf_append_string_n.num_agpr, 0
	.set .L__ockl_fprintf_append_string_n.numbered_sgpr, 32
	.set .L__ockl_fprintf_append_string_n.num_named_barrier, 0
	.set .L__ockl_fprintf_append_string_n.private_seg_size, 0
	.set .L__ockl_fprintf_append_string_n.uses_vcc, 1
	.set .L__ockl_fprintf_append_string_n.uses_flat_scratch, 0
	.set .L__ockl_fprintf_append_string_n.has_dyn_sized_stack, 0
	.set .L__ockl_fprintf_append_string_n.has_recursion, 0
	.set .L__ockl_fprintf_append_string_n.has_indirect_call, 0
	.section	.AMDGPU.csdata,"",@progbits
; Function info:
; codeLenInByte = 4324
; TotalNumSgprs: 34
; NumVgprs: 38
; ScratchSize: 0
; MemoryBound: 0
	.text
	.p2align	2                               ; -- Begin function __assert_fail
	.type	__assert_fail,@function
__assert_fail:                          ; @__assert_fail
; %bb.0:
	s_wait_loadcnt_dscnt 0x0
	s_wait_kmcnt 0x0
	s_mov_b32 s20, s33
	s_mov_b32 s33, s32
	s_or_saveexec_b32 s0, -1
	scratch_store_b32 off, v40, s33 offset:48 ; 4-byte Folded Spill
	s_wait_xcnt 0x0
	s_mov_b32 exec_lo, s0
	v_writelane_b32 v40, s30, 0
	s_add_co_i32 s32, s32, 64
	v_writelane_b32 v40, s31, 1
	v_dual_mov_b32 v37, v4 :: v_dual_mov_b32 v36, v3
	v_mov_b32_e32 v3, 0
	s_get_pc_i64 s[0:1]
	s_add_nc_u64 s[0:1], s[0:1], __const.__assert_fail.fmt@rel64+35
	s_get_pc_i64 s[10:11]
	s_add_nc_u64 s[10:11], s[10:11], __const.__assert_fail.fmt@rel64+20
	v_mbcnt_lo_u32_b32 v52, -1, 0
	v_dual_mov_b32 v7, v1 :: v_dual_mov_b32 v6, v0
	global_load_b128 v[8:11], v3, s[0:1]
	s_wait_xcnt 0x0
	s_get_pc_i64 s[0:1]
	s_add_nc_u64 s[0:1], s[0:1], __const.__assert_fail.fmt@rel64+4
	s_clause 0x1
	s_load_b128 s[4:7], s[0:1], 0x0
	s_load_b128 s[12:15], s[10:11], 0x0
	s_load_b64 s[2:3], s[8:9], 0x50
	s_wait_xcnt 0x0
	v_readfirstlane_b32 s0, v52
	v_mov_b64_e32 v[0:1], 0
	s_delay_alu instid0(VALU_DEP_2)
	v_cmp_eq_u32_e64 s0, s0, v52
	s_wait_kmcnt 0x0
	v_mov_b64_e32 v[14:15], s[6:7]
	v_mov_b64_e32 v[12:13], s[4:5]
	;; [unrolled: 1-line block ×4, first 2 shown]
	s_clause 0x1
	scratch_store_b128 off, v[12:15], s33
	scratch_store_b128 off, v[16:19], s33 offset:16
	s_wait_loadcnt 0x0
	scratch_store_b128 off, v[8:11], s33 offset:31
	s_wait_xcnt 0x0
	s_and_saveexec_b32 s1, s0
	s_cbranch_execz .LBB4_6
; %bb.1:
	global_load_b64 v[10:11], v3, s[2:3] offset:24 scope:SCOPE_SYS
	s_wait_loadcnt 0x0
	global_inv scope:SCOPE_SYS
	s_clause 0x1
	global_load_b64 v[0:1], v3, s[2:3] offset:40
	global_load_b64 v[4:5], v3, s[2:3]
	s_mov_b32 s4, exec_lo
	s_wait_loadcnt 0x1
	v_and_b32_e32 v0, v0, v10
	v_and_b32_e32 v1, v1, v11
	s_delay_alu instid0(VALU_DEP_1) | instskip(SKIP_1) | instid1(VALU_DEP_1)
	v_mul_u64_e32 v[0:1], 24, v[0:1]
	s_wait_loadcnt 0x0
	v_add_nc_u64_e32 v[0:1], v[4:5], v[0:1]
	global_load_b64 v[8:9], v[0:1], off scope:SCOPE_SYS
	s_wait_xcnt 0x0
	s_wait_loadcnt 0x0
	global_atomic_cmpswap_b64 v[0:1], v3, v[8:11], s[2:3] offset:24 th:TH_ATOMIC_RETURN scope:SCOPE_SYS
	s_wait_loadcnt 0x0
	global_inv scope:SCOPE_SYS
	s_wait_xcnt 0x0
	v_cmpx_ne_u64_e64 v[0:1], v[10:11]
	s_cbranch_execz .LBB4_5
; %bb.2:
	v_mov_b32_e32 v4, 0
	s_mov_b32 s5, 0
.LBB4_3:                                ; =>This Inner Loop Header: Depth=1
	s_sleep 1
	s_clause 0x1
	global_load_b64 v[8:9], v4, s[2:3] offset:40
	global_load_b64 v[12:13], v4, s[2:3]
	v_mov_b64_e32 v[10:11], v[0:1]
	s_wait_loadcnt 0x1
	s_delay_alu instid0(VALU_DEP_1) | instskip(NEXT) | instid1(VALU_DEP_2)
	v_and_b32_e32 v0, v8, v10
	v_and_b32_e32 v5, v9, v11
	s_wait_loadcnt 0x0
	s_delay_alu instid0(VALU_DEP_2) | instskip(NEXT) | instid1(VALU_DEP_1)
	v_mad_nc_u64_u32 v[0:1], v0, 24, v[12:13]
	v_mad_u32 v1, v5, 24, v1
	global_load_b64 v[8:9], v[0:1], off scope:SCOPE_SYS
	s_wait_xcnt 0x0
	s_wait_loadcnt 0x0
	global_atomic_cmpswap_b64 v[0:1], v4, v[8:11], s[2:3] offset:24 th:TH_ATOMIC_RETURN scope:SCOPE_SYS
	s_wait_loadcnt 0x0
	global_inv scope:SCOPE_SYS
	v_cmp_eq_u64_e32 vcc_lo, v[0:1], v[10:11]
	s_or_b32 s5, vcc_lo, s5
	s_wait_xcnt 0x0
	s_and_not1_b32 exec_lo, exec_lo, s5
	s_cbranch_execnz .LBB4_3
; %bb.4:
	s_or_b32 exec_lo, exec_lo, s5
.LBB4_5:
	s_delay_alu instid0(SALU_CYCLE_1)
	s_or_b32 exec_lo, exec_lo, s4
.LBB4_6:
	s_delay_alu instid0(SALU_CYCLE_1)
	s_or_b32 exec_lo, exec_lo, s1
	s_clause 0x1
	global_load_b64 v[4:5], v3, s[2:3] offset:40
	global_load_b128 v[8:11], v3, s[2:3]
	v_readfirstlane_b32 s4, v0
	v_readfirstlane_b32 s5, v1
	s_mov_b32 s1, exec_lo
	s_wait_loadcnt 0x1
	v_and_b32_e32 v4, s4, v4
	v_and_b32_e32 v5, s5, v5
	s_delay_alu instid0(VALU_DEP_1) | instskip(SKIP_1) | instid1(VALU_DEP_1)
	v_mul_u64_e32 v[0:1], 24, v[4:5]
	s_wait_loadcnt 0x0
	v_add_nc_u64_e32 v[0:1], v[8:9], v[0:1]
	s_wait_xcnt 0x0
	s_and_saveexec_b32 s6, s0
	s_cbranch_execz .LBB4_8
; %bb.7:
	v_mov_b64_e32 v[14:15], 0x100000002
	v_dual_mov_b32 v12, s1 :: v_dual_mov_b32 v13, 0
	global_store_b128 v[0:1], v[12:15], off offset:8
.LBB4_8:
	s_wait_xcnt 0x0
	s_or_b32 exec_lo, exec_lo, s6
	v_lshlrev_b64_e32 v[4:5], 12, v[4:5]
	s_mov_b32 s12, 0
	v_dual_mov_b32 v35, 0 :: v_dual_lshlrev_b32 v34, 6, v52
	s_mov_b32 s14, s12
	s_mov_b32 s15, s12
	;; [unrolled: 1-line block ×3, first 2 shown]
	s_delay_alu instid0(VALU_DEP_2)
	v_add_nc_u64_e32 v[4:5], v[10:11], v[4:5]
	v_mov_b64_e32 v[18:19], s[14:15]
	v_mov_b64_e32 v[16:17], s[12:13]
	v_dual_mov_b32 v12, 33 :: v_dual_mov_b32 v14, 1
	v_dual_mov_b32 v13, v35 :: v_dual_mov_b32 v15, v35
	v_readfirstlane_b32 s6, v4
	v_readfirstlane_b32 s7, v5
	s_clause 0x3
	global_store_b128 v34, v[12:15], s[6:7]
	global_store_b128 v34, v[16:19], s[6:7] offset:16
	global_store_b128 v34, v[16:19], s[6:7] offset:32
	;; [unrolled: 1-line block ×3, first 2 shown]
	s_wait_xcnt 0x0
	s_and_saveexec_b32 s1, s0
	s_cbranch_execz .LBB4_16
; %bb.9:
	s_clause 0x1
	global_load_b64 v[16:17], v35, s[2:3] offset:32 scope:SCOPE_SYS
	global_load_b64 v[10:11], v35, s[2:3] offset:40
	s_mov_b32 s6, exec_lo
	v_dual_mov_b32 v14, s4 :: v_dual_mov_b32 v15, s5
	s_wait_loadcnt 0x0
	v_and_b32_e32 v11, s5, v11
	v_and_b32_e32 v10, s4, v10
	s_delay_alu instid0(VALU_DEP_1) | instskip(NEXT) | instid1(VALU_DEP_1)
	v_mul_u64_e32 v[10:11], 24, v[10:11]
	v_add_nc_u64_e32 v[12:13], v[8:9], v[10:11]
	global_store_b64 v[12:13], v[16:17], off
	global_wb scope:SCOPE_SYS
	s_wait_storecnt 0x0
	s_wait_xcnt 0x0
	global_atomic_cmpswap_b64 v[10:11], v35, v[14:17], s[2:3] offset:32 th:TH_ATOMIC_RETURN scope:SCOPE_SYS
	s_wait_loadcnt 0x0
	v_cmpx_ne_u64_e64 v[10:11], v[16:17]
	s_cbranch_execz .LBB4_12
; %bb.10:
	v_mov_b32_e32 v3, 0
	s_mov_b32 s7, 0
.LBB4_11:                               ; =>This Inner Loop Header: Depth=1
	v_dual_mov_b32 v8, s4 :: v_dual_mov_b32 v9, s5
	s_sleep 1
	global_store_b64 v[12:13], v[10:11], off
	global_wb scope:SCOPE_SYS
	s_wait_storecnt 0x0
	s_wait_xcnt 0x0
	global_atomic_cmpswap_b64 v[8:9], v3, v[8:11], s[2:3] offset:32 th:TH_ATOMIC_RETURN scope:SCOPE_SYS
	s_wait_loadcnt 0x0
	v_cmp_eq_u64_e32 vcc_lo, v[8:9], v[10:11]
	v_mov_b64_e32 v[10:11], v[8:9]
	s_or_b32 s7, vcc_lo, s7
	s_delay_alu instid0(SALU_CYCLE_1)
	s_and_not1_b32 exec_lo, exec_lo, s7
	s_cbranch_execnz .LBB4_11
.LBB4_12:
	s_or_b32 exec_lo, exec_lo, s6
	v_mov_b32_e32 v11, 0
	s_mov_b32 s7, exec_lo
	s_mov_b32 s6, exec_lo
	v_mbcnt_lo_u32_b32 v3, s7, 0
	global_load_b64 v[8:9], v11, s[2:3] offset:16
	s_wait_xcnt 0x0
	v_cmpx_eq_u32_e32 0, v3
	s_cbranch_execz .LBB4_14
; %bb.13:
	s_bcnt1_i32_b32 s7, s7
	s_delay_alu instid0(SALU_CYCLE_1)
	v_mov_b32_e32 v10, s7
	global_wb scope:SCOPE_SYS
	s_wait_loadcnt 0x0
	s_wait_storecnt 0x0
	global_atomic_add_u64 v[8:9], v[10:11], off offset:8 scope:SCOPE_SYS
.LBB4_14:
	s_wait_xcnt 0x0
	s_or_b32 exec_lo, exec_lo, s6
	s_wait_loadcnt 0x0
	global_load_b64 v[10:11], v[8:9], off offset:16
	s_wait_loadcnt 0x0
	v_cmp_eq_u64_e32 vcc_lo, 0, v[10:11]
	s_cbranch_vccnz .LBB4_16
; %bb.15:
	global_load_b32 v8, v[8:9], off offset:24
	s_wait_xcnt 0x0
	v_mov_b32_e32 v9, 0
	s_wait_loadcnt 0x0
	v_readfirstlane_b32 s6, v8
	global_wb scope:SCOPE_SYS
	s_wait_storecnt 0x0
	global_store_b64 v[10:11], v[8:9], off scope:SCOPE_SYS
	s_and_b32 m0, s6, 0xffffff
	s_sendmsg sendmsg(MSG_INTERRUPT)
.LBB4_16:
	s_wait_xcnt 0x0
	s_or_b32 exec_lo, exec_lo, s1
	v_add_nc_u64_e32 v[4:5], v[4:5], v[34:35]
	s_branch .LBB4_20
.LBB4_17:                               ;   in Loop: Header=BB4_20 Depth=1
	s_wait_xcnt 0x0
	s_or_b32 exec_lo, exec_lo, s1
	s_delay_alu instid0(VALU_DEP_1)
	v_readfirstlane_b32 s1, v3
	s_cmp_eq_u32 s1, 0
	s_cbranch_scc1 .LBB4_19
; %bb.18:                               ;   in Loop: Header=BB4_20 Depth=1
	s_sleep 1
	s_cbranch_execnz .LBB4_20
	s_branch .LBB4_22
.LBB4_19:
	s_branch .LBB4_22
.LBB4_20:                               ; =>This Inner Loop Header: Depth=1
	v_mov_b32_e32 v3, 1
	s_and_saveexec_b32 s1, s0
	s_cbranch_execz .LBB4_17
; %bb.21:                               ;   in Loop: Header=BB4_20 Depth=1
	global_load_b32 v3, v[0:1], off offset:20 scope:SCOPE_SYS
	s_wait_loadcnt 0x0
	global_inv scope:SCOPE_SYS
	v_and_b32_e32 v3, 1, v3
	s_branch .LBB4_17
.LBB4_22:
	global_load_b64 v[12:13], v[4:5], off
	s_wait_xcnt 0x0
	s_and_saveexec_b32 s6, s0
	s_cbranch_execz .LBB4_26
; %bb.23:
	v_mov_b32_e32 v3, 0
	s_clause 0x2
	global_load_b64 v[0:1], v3, s[2:3] offset:40
	global_load_b64 v[16:17], v3, s[2:3] offset:24 scope:SCOPE_SYS
	global_load_b64 v[4:5], v3, s[2:3]
	s_wait_loadcnt 0x2
	v_readfirstlane_b32 s10, v0
	v_readfirstlane_b32 s11, v1
	s_add_nc_u64 s[0:1], s[10:11], 1
	s_delay_alu instid0(SALU_CYCLE_1) | instskip(NEXT) | instid1(SALU_CYCLE_1)
	s_add_nc_u64 s[4:5], s[0:1], s[4:5]
	s_cmp_eq_u64 s[4:5], 0
	s_cselect_b32 s1, s1, s5
	s_cselect_b32 s0, s0, s4
	v_mov_b32_e32 v15, s1
	s_and_b64 s[4:5], s[0:1], s[10:11]
	v_mov_b32_e32 v14, s0
	s_mul_u64 s[4:5], s[4:5], 24
	s_wait_loadcnt 0x0
	v_add_nc_u64_e32 v[0:1], s[4:5], v[4:5]
	global_store_b64 v[0:1], v[16:17], off
	global_wb scope:SCOPE_SYS
	s_wait_storecnt 0x0
	s_wait_xcnt 0x0
	global_atomic_cmpswap_b64 v[10:11], v3, v[14:17], s[2:3] offset:24 th:TH_ATOMIC_RETURN scope:SCOPE_SYS
	s_wait_loadcnt 0x0
	v_cmp_ne_u64_e32 vcc_lo, v[10:11], v[16:17]
	s_and_b32 exec_lo, exec_lo, vcc_lo
	s_cbranch_execz .LBB4_26
; %bb.24:
	s_mov_b32 s4, 0
.LBB4_25:                               ; =>This Inner Loop Header: Depth=1
	v_dual_mov_b32 v8, s0 :: v_dual_mov_b32 v9, s1
	s_sleep 1
	global_store_b64 v[0:1], v[10:11], off
	global_wb scope:SCOPE_SYS
	s_wait_storecnt 0x0
	s_wait_xcnt 0x0
	global_atomic_cmpswap_b64 v[4:5], v3, v[8:11], s[2:3] offset:24 th:TH_ATOMIC_RETURN scope:SCOPE_SYS
	s_wait_loadcnt 0x0
	v_cmp_eq_u64_e32 vcc_lo, v[4:5], v[10:11]
	v_mov_b64_e32 v[10:11], v[4:5]
	s_or_b32 s4, vcc_lo, s4
	s_delay_alu instid0(SALU_CYCLE_1)
	s_and_not1_b32 exec_lo, exec_lo, s4
	s_cbranch_execnz .LBB4_25
.LBB4_26:
	s_or_b32 exec_lo, exec_lo, s6
	s_mov_b32 s1, s33
	s_mov_b32 s0, 0
.LBB4_27:                               ; =>This Inner Loop Header: Depth=1
	scratch_load_u8 v0, off, s1
	s_wait_xcnt 0x0
	s_add_co_i32 s1, s1, 1
	s_wait_loadcnt 0x0
	v_cmp_eq_u16_e32 vcc_lo, 0, v0
	v_mov_b32_e32 v0, s1
	s_or_b32 s0, vcc_lo, s0
	s_delay_alu instid0(SALU_CYCLE_1)
	s_and_not1_b32 exec_lo, exec_lo, s0
	s_cbranch_execnz .LBB4_27
; %bb.28:
	s_or_b32 exec_lo, exec_lo, s0
	s_cmp_lg_u32 s33, -1
	s_cbranch_scc0 .LBB4_113
; %bb.29:
	s_mov_b64 s[0:1], src_flat_scratch_base_lo
	v_mov_b64_e32 v[16:17], 0x100000002
	v_dual_add_nc_u32 v1, s0, v0 :: v_dual_mov_b32 v35, 0
	s_add_co_i32 s0, s33, s0
	v_dual_mov_b32 v9, v13 :: v_dual_bitop2_b32 v0, 2, v12 bitop3:0x40
	s_delay_alu instid0(VALU_DEP_2) | instskip(SKIP_3) | instid1(VALU_DEP_2)
	v_subrev_nc_u32_e32 v4, s0, v1
	v_dual_mov_b32 v1, s33 :: v_dual_bitop2_b32 v8, -3, v12 bitop3:0x40
	s_mov_b32 s7, 0
	s_mov_b32 s6, 0
	v_ashrrev_i32_e32 v5, 31, v4
	s_branch .LBB4_31
.LBB4_30:                               ;   in Loop: Header=BB4_31 Depth=1
	s_or_b32 exec_lo, exec_lo, s10
	v_sub_nc_u64_e32 v[4:5], v[4:5], v[38:39]
	v_add_nc_u32_e32 v1, v1, v38
	s_delay_alu instid0(VALU_DEP_2) | instskip(SKIP_1) | instid1(SALU_CYCLE_1)
	v_cmp_eq_u64_e32 vcc_lo, 0, v[4:5]
	s_or_b32 s6, vcc_lo, s6
	s_and_not1_b32 exec_lo, exec_lo, s6
	s_cbranch_execz .LBB4_192
.LBB4_31:                               ; =>This Loop Header: Depth=1
                                        ;     Child Loop BB4_34 Depth 2
                                        ;     Child Loop BB4_42 Depth 2
	;; [unrolled: 1-line block ×11, first 2 shown]
	s_delay_alu instid0(VALU_DEP_1)
	v_min_u64 v[38:39], v[4:5], 56
	v_add_nc_u32_e32 v14, 8, v1
	s_mov_b32 s0, exec_lo
	v_cmpx_gt_u64_e32 8, v[4:5]
	s_xor_b32 s4, exec_lo, s0
	s_cbranch_execz .LBB4_37
; %bb.32:                               ;   in Loop: Header=BB4_31 Depth=1
	v_mov_b64_e32 v[10:11], 0
	s_mov_b32 s5, exec_lo
	v_cmpx_ne_u64_e32 0, v[4:5]
	s_cbranch_execz .LBB4_36
; %bb.33:                               ;   in Loop: Header=BB4_31 Depth=1
	v_mov_b64_e32 v[10:11], 0
	v_dual_mov_b32 v3, v1 :: v_dual_lshlrev_b32 v14, 3, v38
	s_mov_b64 s[0:1], 0
	s_mov_b32 s10, 0
.LBB4_34:                               ;   Parent Loop BB4_31 Depth=1
                                        ; =>  This Inner Loop Header: Depth=2
	scratch_load_u8 v15, v3, off
	s_wait_xcnt 0x0
	v_dual_mov_b32 v19, s7 :: v_dual_add_nc_u32 v3, 1, v3
	s_wait_loadcnt 0x0
	v_and_b32_e32 v18, 0xffff, v15
	s_delay_alu instid0(VALU_DEP_1) | instskip(SKIP_1) | instid1(SALU_CYCLE_1)
	v_lshlrev_b64_e32 v[18:19], s0, v[18:19]
	s_add_nc_u64 s[0:1], s[0:1], 8
	v_cmp_eq_u32_e32 vcc_lo, s0, v14
	s_delay_alu instid0(VALU_DEP_2) | instskip(NEXT) | instid1(VALU_DEP_3)
	v_or_b32_e32 v11, v19, v11
	v_or_b32_e32 v10, v18, v10
	s_or_b32 s10, vcc_lo, s10
	s_delay_alu instid0(SALU_CYCLE_1)
	s_and_not1_b32 exec_lo, exec_lo, s10
	s_cbranch_execnz .LBB4_34
; %bb.35:                               ;   in Loop: Header=BB4_31 Depth=1
	s_or_b32 exec_lo, exec_lo, s10
.LBB4_36:                               ;   in Loop: Header=BB4_31 Depth=1
	s_delay_alu instid0(SALU_CYCLE_1)
	s_or_b32 exec_lo, exec_lo, s5
	v_mov_b32_e32 v14, v1
.LBB4_37:                               ;   in Loop: Header=BB4_31 Depth=1
	s_or_saveexec_b32 s0, s4
	v_mov_b32_e32 v15, 0
	s_xor_b32 exec_lo, exec_lo, s0
	s_cbranch_execz .LBB4_39
; %bb.38:                               ;   in Loop: Header=BB4_31 Depth=1
	scratch_load_b64 v[10:11], v1, off
	v_add_nc_u32_e32 v15, -8, v38
.LBB4_39:                               ;   in Loop: Header=BB4_31 Depth=1
	s_wait_xcnt 0x0
	s_or_b32 exec_lo, exec_lo, s0
	v_add_nc_u32_e32 v3, 8, v14
                                        ; implicit-def: $vgpr18_vgpr19
	s_mov_b32 s0, exec_lo
	v_cmpx_gt_u32_e32 8, v15
	s_xor_b32 s4, exec_lo, s0
	s_cbranch_execz .LBB4_45
; %bb.40:                               ;   in Loop: Header=BB4_31 Depth=1
	v_mov_b64_e32 v[18:19], 0
	s_mov_b32 s5, exec_lo
	v_cmpx_ne_u32_e32 0, v15
	s_cbranch_execz .LBB4_44
; %bb.41:                               ;   in Loop: Header=BB4_31 Depth=1
	v_mov_b64_e32 v[18:19], 0
	s_mov_b64 s[0:1], 0
	s_mov_b32 s10, 0
	s_mov_b32 s11, 0
.LBB4_42:                               ;   Parent Loop BB4_31 Depth=1
                                        ; =>  This Inner Loop Header: Depth=2
	scratch_load_u8 v3, v14, s11
	v_mov_b32_e32 v21, s7
	s_wait_xcnt 0x0
	s_add_co_i32 s11, s11, 1
	s_delay_alu instid0(SALU_CYCLE_1) | instskip(SKIP_3) | instid1(VALU_DEP_1)
	v_cmp_eq_u32_e32 vcc_lo, s11, v15
	s_or_b32 s10, vcc_lo, s10
	s_wait_loadcnt 0x0
	v_and_b32_e32 v20, 0xffff, v3
	v_lshlrev_b64_e32 v[20:21], s0, v[20:21]
	s_add_nc_u64 s[0:1], s[0:1], 8
	s_delay_alu instid0(VALU_DEP_1) | instskip(NEXT) | instid1(VALU_DEP_2)
	v_or_b32_e32 v19, v21, v19
	v_or_b32_e32 v18, v20, v18
	s_and_not1_b32 exec_lo, exec_lo, s10
	s_cbranch_execnz .LBB4_42
; %bb.43:                               ;   in Loop: Header=BB4_31 Depth=1
	s_or_b32 exec_lo, exec_lo, s10
.LBB4_44:                               ;   in Loop: Header=BB4_31 Depth=1
	s_delay_alu instid0(SALU_CYCLE_1)
	s_or_b32 exec_lo, exec_lo, s5
	v_mov_b32_e32 v3, v14
                                        ; implicit-def: $vgpr15
.LBB4_45:                               ;   in Loop: Header=BB4_31 Depth=1
	s_or_saveexec_b32 s0, s4
	v_mov_b32_e32 v22, 0
	s_xor_b32 exec_lo, exec_lo, s0
	s_cbranch_execz .LBB4_47
; %bb.46:                               ;   in Loop: Header=BB4_31 Depth=1
	scratch_load_b64 v[18:19], v14, off
	v_add_nc_u32_e32 v22, -8, v15
.LBB4_47:                               ;   in Loop: Header=BB4_31 Depth=1
	s_wait_xcnt 0x0
	s_or_b32 exec_lo, exec_lo, s0
	v_add_nc_u32_e32 v14, 8, v3
	s_mov_b32 s0, exec_lo
	v_cmpx_gt_u32_e32 8, v22
	s_xor_b32 s4, exec_lo, s0
	s_cbranch_execz .LBB4_53
; %bb.48:                               ;   in Loop: Header=BB4_31 Depth=1
	v_mov_b64_e32 v[20:21], 0
	s_mov_b32 s5, exec_lo
	v_cmpx_ne_u32_e32 0, v22
	s_cbranch_execz .LBB4_52
; %bb.49:                               ;   in Loop: Header=BB4_31 Depth=1
	v_mov_b64_e32 v[20:21], 0
	s_mov_b64 s[0:1], 0
	s_mov_b32 s10, 0
	s_mov_b32 s11, 0
.LBB4_50:                               ;   Parent Loop BB4_31 Depth=1
                                        ; =>  This Inner Loop Header: Depth=2
	scratch_load_u8 v14, v3, s11
	v_mov_b32_e32 v15, s7
	s_wait_xcnt 0x0
	s_add_co_i32 s11, s11, 1
	s_delay_alu instid0(SALU_CYCLE_1) | instskip(SKIP_3) | instid1(VALU_DEP_1)
	v_cmp_eq_u32_e32 vcc_lo, s11, v22
	s_or_b32 s10, vcc_lo, s10
	s_wait_loadcnt 0x0
	v_and_b32_e32 v14, 0xffff, v14
	v_lshlrev_b64_e32 v[14:15], s0, v[14:15]
	s_add_nc_u64 s[0:1], s[0:1], 8
	s_delay_alu instid0(VALU_DEP_1) | instskip(NEXT) | instid1(VALU_DEP_2)
	v_or_b32_e32 v21, v15, v21
	v_or_b32_e32 v20, v14, v20
	s_and_not1_b32 exec_lo, exec_lo, s10
	s_cbranch_execnz .LBB4_50
; %bb.51:                               ;   in Loop: Header=BB4_31 Depth=1
	s_or_b32 exec_lo, exec_lo, s10
.LBB4_52:                               ;   in Loop: Header=BB4_31 Depth=1
	s_delay_alu instid0(SALU_CYCLE_1)
	s_or_b32 exec_lo, exec_lo, s5
	v_mov_b32_e32 v14, v3
                                        ; implicit-def: $vgpr22
.LBB4_53:                               ;   in Loop: Header=BB4_31 Depth=1
	s_or_saveexec_b32 s0, s4
	v_mov_b32_e32 v15, 0
	s_xor_b32 exec_lo, exec_lo, s0
	s_cbranch_execz .LBB4_55
; %bb.54:                               ;   in Loop: Header=BB4_31 Depth=1
	scratch_load_b64 v[20:21], v3, off
	v_add_nc_u32_e32 v15, -8, v22
.LBB4_55:                               ;   in Loop: Header=BB4_31 Depth=1
	s_wait_xcnt 0x0
	s_or_b32 exec_lo, exec_lo, s0
	v_add_nc_u32_e32 v3, 8, v14
                                        ; implicit-def: $vgpr22_vgpr23
	s_mov_b32 s0, exec_lo
	v_cmpx_gt_u32_e32 8, v15
	s_xor_b32 s4, exec_lo, s0
	s_cbranch_execz .LBB4_61
; %bb.56:                               ;   in Loop: Header=BB4_31 Depth=1
	v_mov_b64_e32 v[22:23], 0
	s_mov_b32 s5, exec_lo
	v_cmpx_ne_u32_e32 0, v15
	s_cbranch_execz .LBB4_60
; %bb.57:                               ;   in Loop: Header=BB4_31 Depth=1
	v_mov_b64_e32 v[22:23], 0
	s_mov_b64 s[0:1], 0
	s_mov_b32 s10, 0
	s_mov_b32 s11, 0
.LBB4_58:                               ;   Parent Loop BB4_31 Depth=1
                                        ; =>  This Inner Loop Header: Depth=2
	scratch_load_u8 v3, v14, s11
	v_mov_b32_e32 v25, s7
	s_wait_xcnt 0x0
	s_add_co_i32 s11, s11, 1
	s_delay_alu instid0(SALU_CYCLE_1) | instskip(SKIP_3) | instid1(VALU_DEP_1)
	v_cmp_eq_u32_e32 vcc_lo, s11, v15
	s_or_b32 s10, vcc_lo, s10
	s_wait_loadcnt 0x0
	v_and_b32_e32 v24, 0xffff, v3
	v_lshlrev_b64_e32 v[24:25], s0, v[24:25]
	s_add_nc_u64 s[0:1], s[0:1], 8
	s_delay_alu instid0(VALU_DEP_1) | instskip(NEXT) | instid1(VALU_DEP_2)
	v_or_b32_e32 v23, v25, v23
	v_or_b32_e32 v22, v24, v22
	s_and_not1_b32 exec_lo, exec_lo, s10
	s_cbranch_execnz .LBB4_58
; %bb.59:                               ;   in Loop: Header=BB4_31 Depth=1
	s_or_b32 exec_lo, exec_lo, s10
.LBB4_60:                               ;   in Loop: Header=BB4_31 Depth=1
	s_delay_alu instid0(SALU_CYCLE_1)
	s_or_b32 exec_lo, exec_lo, s5
	v_mov_b32_e32 v3, v14
                                        ; implicit-def: $vgpr15
.LBB4_61:                               ;   in Loop: Header=BB4_31 Depth=1
	s_or_saveexec_b32 s0, s4
	v_mov_b32_e32 v26, 0
	s_xor_b32 exec_lo, exec_lo, s0
	s_cbranch_execz .LBB4_63
; %bb.62:                               ;   in Loop: Header=BB4_31 Depth=1
	scratch_load_b64 v[22:23], v14, off
	v_add_nc_u32_e32 v26, -8, v15
.LBB4_63:                               ;   in Loop: Header=BB4_31 Depth=1
	s_wait_xcnt 0x0
	s_or_b32 exec_lo, exec_lo, s0
	v_add_nc_u32_e32 v14, 8, v3
	s_mov_b32 s0, exec_lo
	v_cmpx_gt_u32_e32 8, v26
	s_xor_b32 s4, exec_lo, s0
	s_cbranch_execz .LBB4_69
; %bb.64:                               ;   in Loop: Header=BB4_31 Depth=1
	v_mov_b64_e32 v[24:25], 0
	s_mov_b32 s5, exec_lo
	v_cmpx_ne_u32_e32 0, v26
	s_cbranch_execz .LBB4_68
; %bb.65:                               ;   in Loop: Header=BB4_31 Depth=1
	v_mov_b64_e32 v[24:25], 0
	s_mov_b64 s[0:1], 0
	s_mov_b32 s10, 0
	s_mov_b32 s11, 0
.LBB4_66:                               ;   Parent Loop BB4_31 Depth=1
                                        ; =>  This Inner Loop Header: Depth=2
	scratch_load_u8 v14, v3, s11
	v_mov_b32_e32 v15, s7
	s_wait_xcnt 0x0
	s_add_co_i32 s11, s11, 1
	s_delay_alu instid0(SALU_CYCLE_1) | instskip(SKIP_3) | instid1(VALU_DEP_1)
	v_cmp_eq_u32_e32 vcc_lo, s11, v26
	s_or_b32 s10, vcc_lo, s10
	s_wait_loadcnt 0x0
	v_and_b32_e32 v14, 0xffff, v14
	v_lshlrev_b64_e32 v[14:15], s0, v[14:15]
	s_add_nc_u64 s[0:1], s[0:1], 8
	s_delay_alu instid0(VALU_DEP_1) | instskip(NEXT) | instid1(VALU_DEP_2)
	v_or_b32_e32 v25, v15, v25
	v_or_b32_e32 v24, v14, v24
	s_and_not1_b32 exec_lo, exec_lo, s10
	s_cbranch_execnz .LBB4_66
; %bb.67:                               ;   in Loop: Header=BB4_31 Depth=1
	s_or_b32 exec_lo, exec_lo, s10
.LBB4_68:                               ;   in Loop: Header=BB4_31 Depth=1
	s_delay_alu instid0(SALU_CYCLE_1)
	s_or_b32 exec_lo, exec_lo, s5
	v_mov_b32_e32 v14, v3
                                        ; implicit-def: $vgpr26
.LBB4_69:                               ;   in Loop: Header=BB4_31 Depth=1
	s_or_saveexec_b32 s0, s4
	v_mov_b32_e32 v15, 0
	s_xor_b32 exec_lo, exec_lo, s0
	s_cbranch_execz .LBB4_71
; %bb.70:                               ;   in Loop: Header=BB4_31 Depth=1
	scratch_load_b64 v[24:25], v3, off
	v_add_nc_u32_e32 v15, -8, v26
.LBB4_71:                               ;   in Loop: Header=BB4_31 Depth=1
	s_wait_xcnt 0x0
	s_or_b32 exec_lo, exec_lo, s0
	v_add_nc_u32_e32 v3, 8, v14
                                        ; implicit-def: $vgpr26_vgpr27
	s_mov_b32 s0, exec_lo
	v_cmpx_gt_u32_e32 8, v15
	s_xor_b32 s4, exec_lo, s0
	s_cbranch_execz .LBB4_77
; %bb.72:                               ;   in Loop: Header=BB4_31 Depth=1
	v_mov_b64_e32 v[26:27], 0
	s_mov_b32 s5, exec_lo
	v_cmpx_ne_u32_e32 0, v15
	s_cbranch_execz .LBB4_76
; %bb.73:                               ;   in Loop: Header=BB4_31 Depth=1
	v_mov_b64_e32 v[26:27], 0
	s_mov_b64 s[0:1], 0
	s_mov_b32 s10, 0
	s_mov_b32 s11, 0
.LBB4_74:                               ;   Parent Loop BB4_31 Depth=1
                                        ; =>  This Inner Loop Header: Depth=2
	scratch_load_u8 v3, v14, s11
	v_mov_b32_e32 v29, s7
	s_wait_xcnt 0x0
	s_add_co_i32 s11, s11, 1
	s_delay_alu instid0(SALU_CYCLE_1) | instskip(SKIP_3) | instid1(VALU_DEP_1)
	v_cmp_eq_u32_e32 vcc_lo, s11, v15
	s_or_b32 s10, vcc_lo, s10
	s_wait_loadcnt 0x0
	v_and_b32_e32 v28, 0xffff, v3
	v_lshlrev_b64_e32 v[28:29], s0, v[28:29]
	s_add_nc_u64 s[0:1], s[0:1], 8
	s_delay_alu instid0(VALU_DEP_1) | instskip(NEXT) | instid1(VALU_DEP_2)
	v_or_b32_e32 v27, v29, v27
	v_or_b32_e32 v26, v28, v26
	s_and_not1_b32 exec_lo, exec_lo, s10
	s_cbranch_execnz .LBB4_74
; %bb.75:                               ;   in Loop: Header=BB4_31 Depth=1
	s_or_b32 exec_lo, exec_lo, s10
.LBB4_76:                               ;   in Loop: Header=BB4_31 Depth=1
	s_delay_alu instid0(SALU_CYCLE_1)
	s_or_b32 exec_lo, exec_lo, s5
	v_mov_b32_e32 v3, v14
                                        ; implicit-def: $vgpr15
.LBB4_77:                               ;   in Loop: Header=BB4_31 Depth=1
	s_or_saveexec_b32 s0, s4
	v_mov_b32_e32 v30, 0
	s_xor_b32 exec_lo, exec_lo, s0
	s_cbranch_execz .LBB4_79
; %bb.78:                               ;   in Loop: Header=BB4_31 Depth=1
	scratch_load_b64 v[26:27], v14, off
	v_add_nc_u32_e32 v30, -8, v15
.LBB4_79:                               ;   in Loop: Header=BB4_31 Depth=1
	s_wait_xcnt 0x0
	s_or_b32 exec_lo, exec_lo, s0
	s_delay_alu instid0(SALU_CYCLE_1) | instskip(NEXT) | instid1(VALU_DEP_1)
	s_mov_b32 s0, exec_lo
	v_cmpx_gt_u32_e32 8, v30
	s_xor_b32 s4, exec_lo, s0
	s_cbranch_execz .LBB4_85
; %bb.80:                               ;   in Loop: Header=BB4_31 Depth=1
	v_mov_b64_e32 v[28:29], 0
	s_mov_b32 s5, exec_lo
	v_cmpx_ne_u32_e32 0, v30
	s_cbranch_execz .LBB4_84
; %bb.81:                               ;   in Loop: Header=BB4_31 Depth=1
	v_mov_b64_e32 v[28:29], 0
	s_mov_b64 s[0:1], 0
	s_mov_b32 s10, 0
.LBB4_82:                               ;   Parent Loop BB4_31 Depth=1
                                        ; =>  This Inner Loop Header: Depth=2
	scratch_load_u8 v14, v3, off
	v_dual_mov_b32 v15, s7 :: v_dual_add_nc_u32 v30, -1, v30
	s_delay_alu instid0(VALU_DEP_1) | instskip(SKIP_3) | instid1(VALU_DEP_1)
	v_cmp_eq_u32_e32 vcc_lo, 0, v30
	s_or_b32 s10, vcc_lo, s10
	s_wait_loadcnt 0x0
	v_and_b32_e32 v14, 0xffff, v14
	v_lshlrev_b64_e32 v[14:15], s0, v[14:15]
	s_wait_xcnt 0x0
	v_add_nc_u32_e32 v3, 1, v3
	s_add_nc_u64 s[0:1], s[0:1], 8
	s_delay_alu instid0(VALU_DEP_2) | instskip(NEXT) | instid1(VALU_DEP_3)
	v_or_b32_e32 v29, v15, v29
	v_or_b32_e32 v28, v14, v28
	s_and_not1_b32 exec_lo, exec_lo, s10
	s_cbranch_execnz .LBB4_82
; %bb.83:                               ;   in Loop: Header=BB4_31 Depth=1
	s_or_b32 exec_lo, exec_lo, s10
.LBB4_84:                               ;   in Loop: Header=BB4_31 Depth=1
	s_delay_alu instid0(SALU_CYCLE_1)
	s_or_b32 exec_lo, exec_lo, s5
                                        ; implicit-def: $vgpr3
.LBB4_85:                               ;   in Loop: Header=BB4_31 Depth=1
	s_and_not1_saveexec_b32 s0, s4
	s_cbranch_execz .LBB4_87
; %bb.86:                               ;   in Loop: Header=BB4_31 Depth=1
	scratch_load_b64 v[28:29], v3, off
.LBB4_87:                               ;   in Loop: Header=BB4_31 Depth=1
	s_wait_xcnt 0x0
	s_or_b32 exec_lo, exec_lo, s0
	v_readfirstlane_b32 s0, v52
	v_mov_b64_e32 v[14:15], 0
	s_delay_alu instid0(VALU_DEP_2)
	v_cmp_eq_u32_e64 s0, s0, v52
	s_and_saveexec_b32 s1, s0
	s_cbranch_execz .LBB4_93
; %bb.88:                               ;   in Loop: Header=BB4_31 Depth=1
	global_load_b64 v[32:33], v35, s[2:3] offset:24 scope:SCOPE_SYS
	s_wait_loadcnt 0x0
	global_inv scope:SCOPE_SYS
	s_clause 0x1
	global_load_b64 v[14:15], v35, s[2:3] offset:40
	global_load_b64 v[30:31], v35, s[2:3]
	s_mov_b32 s4, exec_lo
	s_wait_loadcnt 0x1
	v_and_b32_e32 v14, v14, v32
	v_and_b32_e32 v15, v15, v33
	s_delay_alu instid0(VALU_DEP_1) | instskip(SKIP_1) | instid1(VALU_DEP_1)
	v_mul_u64_e32 v[14:15], 24, v[14:15]
	s_wait_loadcnt 0x0
	v_add_nc_u64_e32 v[14:15], v[30:31], v[14:15]
	global_load_b64 v[30:31], v[14:15], off scope:SCOPE_SYS
	s_wait_xcnt 0x0
	s_wait_loadcnt 0x0
	global_atomic_cmpswap_b64 v[14:15], v35, v[30:33], s[2:3] offset:24 th:TH_ATOMIC_RETURN scope:SCOPE_SYS
	s_wait_loadcnt 0x0
	global_inv scope:SCOPE_SYS
	s_wait_xcnt 0x0
	v_cmpx_ne_u64_e64 v[14:15], v[32:33]
	s_cbranch_execz .LBB4_92
; %bb.89:                               ;   in Loop: Header=BB4_31 Depth=1
	s_mov_b32 s5, 0
.LBB4_90:                               ;   Parent Loop BB4_31 Depth=1
                                        ; =>  This Inner Loop Header: Depth=2
	s_sleep 1
	s_clause 0x1
	global_load_b64 v[30:31], v35, s[2:3] offset:40
	global_load_b64 v[48:49], v35, s[2:3]
	v_mov_b64_e32 v[32:33], v[14:15]
	s_wait_loadcnt 0x1
	s_delay_alu instid0(VALU_DEP_1) | instskip(SKIP_1) | instid1(VALU_DEP_1)
	v_and_b32_e32 v3, v30, v32
	s_wait_loadcnt 0x0
	v_mad_nc_u64_u32 v[14:15], v3, 24, v[48:49]
	s_delay_alu instid0(VALU_DEP_3) | instskip(NEXT) | instid1(VALU_DEP_1)
	v_and_b32_e32 v3, v31, v33
	v_mad_u32 v15, v3, 24, v15
	global_load_b64 v[30:31], v[14:15], off scope:SCOPE_SYS
	s_wait_xcnt 0x0
	s_wait_loadcnt 0x0
	global_atomic_cmpswap_b64 v[14:15], v35, v[30:33], s[2:3] offset:24 th:TH_ATOMIC_RETURN scope:SCOPE_SYS
	s_wait_loadcnt 0x0
	global_inv scope:SCOPE_SYS
	v_cmp_eq_u64_e32 vcc_lo, v[14:15], v[32:33]
	s_or_b32 s5, vcc_lo, s5
	s_wait_xcnt 0x0
	s_and_not1_b32 exec_lo, exec_lo, s5
	s_cbranch_execnz .LBB4_90
; %bb.91:                               ;   in Loop: Header=BB4_31 Depth=1
	s_or_b32 exec_lo, exec_lo, s5
.LBB4_92:                               ;   in Loop: Header=BB4_31 Depth=1
	s_delay_alu instid0(SALU_CYCLE_1)
	s_or_b32 exec_lo, exec_lo, s4
.LBB4_93:                               ;   in Loop: Header=BB4_31 Depth=1
	s_delay_alu instid0(SALU_CYCLE_1)
	s_or_b32 exec_lo, exec_lo, s1
	s_clause 0x1
	global_load_b64 v[48:49], v35, s[2:3] offset:40
	global_load_b128 v[30:33], v35, s[2:3]
	v_readfirstlane_b32 s4, v14
	v_readfirstlane_b32 s5, v15
	s_mov_b32 s1, exec_lo
	s_wait_loadcnt 0x1
	v_and_b32_e32 v50, s4, v48
	v_and_b32_e32 v51, s5, v49
	s_delay_alu instid0(VALU_DEP_1) | instskip(SKIP_1) | instid1(VALU_DEP_1)
	v_mul_u64_e32 v[14:15], 24, v[50:51]
	s_wait_loadcnt 0x0
	v_add_nc_u64_e32 v[48:49], v[30:31], v[14:15]
	s_wait_xcnt 0x0
	s_and_saveexec_b32 s10, s0
	s_cbranch_execz .LBB4_95
; %bb.94:                               ;   in Loop: Header=BB4_31 Depth=1
	v_dual_mov_b32 v14, s1 :: v_dual_mov_b32 v15, v35
	global_store_b128 v[48:49], v[14:17], off offset:8
.LBB4_95:                               ;   in Loop: Header=BB4_31 Depth=1
	s_wait_xcnt 0x0
	s_or_b32 exec_lo, exec_lo, s10
	v_cmp_gt_u64_e32 vcc_lo, 57, v[4:5]
	v_lshlrev_b64_e32 v[14:15], 12, v[50:51]
	v_and_b32_e32 v8, 0xffffff1f, v8
	v_lshl_add_u32 v50, v38, 2, 28
	v_cndmask_b32_e32 v3, 0, v0, vcc_lo
	s_delay_alu instid0(VALU_DEP_4) | instskip(NEXT) | instid1(VALU_DEP_2)
	v_add_nc_u64_e32 v[14:15], v[32:33], v[14:15]
	v_or_b32_e32 v3, v8, v3
	s_delay_alu instid0(VALU_DEP_2) | instskip(NEXT) | instid1(VALU_DEP_3)
	v_readfirstlane_b32 s10, v14
	v_readfirstlane_b32 s11, v15
	s_delay_alu instid0(VALU_DEP_3)
	v_and_or_b32 v8, 0x1e0, v50, v3
	s_clause 0x3
	global_store_b128 v34, v[8:11], s[10:11]
	global_store_b128 v34, v[18:21], s[10:11] offset:16
	global_store_b128 v34, v[22:25], s[10:11] offset:32
	;; [unrolled: 1-line block ×3, first 2 shown]
	s_wait_xcnt 0x0
	s_and_saveexec_b32 s1, s0
	s_cbranch_execz .LBB4_103
; %bb.96:                               ;   in Loop: Header=BB4_31 Depth=1
	s_clause 0x1
	global_load_b64 v[22:23], v35, s[2:3] offset:32 scope:SCOPE_SYS
	global_load_b64 v[8:9], v35, s[2:3] offset:40
	s_mov_b32 s10, exec_lo
	v_dual_mov_b32 v20, s4 :: v_dual_mov_b32 v21, s5
	s_wait_loadcnt 0x0
	v_and_b32_e32 v9, s5, v9
	v_and_b32_e32 v8, s4, v8
	s_delay_alu instid0(VALU_DEP_1) | instskip(NEXT) | instid1(VALU_DEP_1)
	v_mul_u64_e32 v[8:9], 24, v[8:9]
	v_add_nc_u64_e32 v[18:19], v[30:31], v[8:9]
	global_store_b64 v[18:19], v[22:23], off
	global_wb scope:SCOPE_SYS
	s_wait_storecnt 0x0
	s_wait_xcnt 0x0
	global_atomic_cmpswap_b64 v[10:11], v35, v[20:23], s[2:3] offset:32 th:TH_ATOMIC_RETURN scope:SCOPE_SYS
	s_wait_loadcnt 0x0
	v_cmpx_ne_u64_e64 v[10:11], v[22:23]
	s_cbranch_execz .LBB4_99
; %bb.97:                               ;   in Loop: Header=BB4_31 Depth=1
	s_mov_b32 s11, 0
.LBB4_98:                               ;   Parent Loop BB4_31 Depth=1
                                        ; =>  This Inner Loop Header: Depth=2
	v_dual_mov_b32 v8, s4 :: v_dual_mov_b32 v9, s5
	s_sleep 1
	global_store_b64 v[18:19], v[10:11], off
	global_wb scope:SCOPE_SYS
	s_wait_storecnt 0x0
	s_wait_xcnt 0x0
	global_atomic_cmpswap_b64 v[8:9], v35, v[8:11], s[2:3] offset:32 th:TH_ATOMIC_RETURN scope:SCOPE_SYS
	s_wait_loadcnt 0x0
	v_cmp_eq_u64_e32 vcc_lo, v[8:9], v[10:11]
	v_mov_b64_e32 v[10:11], v[8:9]
	s_or_b32 s11, vcc_lo, s11
	s_delay_alu instid0(SALU_CYCLE_1)
	s_and_not1_b32 exec_lo, exec_lo, s11
	s_cbranch_execnz .LBB4_98
.LBB4_99:                               ;   in Loop: Header=BB4_31 Depth=1
	s_or_b32 exec_lo, exec_lo, s10
	global_load_b64 v[8:9], v35, s[2:3] offset:16
	s_mov_b32 s11, exec_lo
	s_mov_b32 s10, exec_lo
	v_mbcnt_lo_u32_b32 v3, s11, 0
	s_wait_xcnt 0x0
	s_delay_alu instid0(VALU_DEP_1)
	v_cmpx_eq_u32_e32 0, v3
	s_cbranch_execz .LBB4_101
; %bb.100:                              ;   in Loop: Header=BB4_31 Depth=1
	s_bcnt1_i32_b32 s11, s11
	s_delay_alu instid0(SALU_CYCLE_1)
	v_dual_mov_b32 v11, v35 :: v_dual_mov_b32 v10, s11
	global_wb scope:SCOPE_SYS
	s_wait_loadcnt 0x0
	s_wait_storecnt 0x0
	global_atomic_add_u64 v[8:9], v[10:11], off offset:8 scope:SCOPE_SYS
.LBB4_101:                              ;   in Loop: Header=BB4_31 Depth=1
	s_wait_xcnt 0x0
	s_or_b32 exec_lo, exec_lo, s10
	s_wait_loadcnt 0x0
	global_load_b64 v[10:11], v[8:9], off offset:16
	s_wait_loadcnt 0x0
	v_cmp_eq_u64_e32 vcc_lo, 0, v[10:11]
	s_cbranch_vccnz .LBB4_103
; %bb.102:                              ;   in Loop: Header=BB4_31 Depth=1
	global_load_b32 v8, v[8:9], off offset:24
	s_wait_xcnt 0x0
	v_mov_b32_e32 v9, v35
	s_wait_loadcnt 0x0
	v_readfirstlane_b32 s10, v8
	global_wb scope:SCOPE_SYS
	s_wait_storecnt 0x0
	global_store_b64 v[10:11], v[8:9], off scope:SCOPE_SYS
	s_and_b32 m0, s10, 0xffffff
	s_sendmsg sendmsg(MSG_INTERRUPT)
.LBB4_103:                              ;   in Loop: Header=BB4_31 Depth=1
	s_wait_xcnt 0x0
	s_or_b32 exec_lo, exec_lo, s1
	v_add_nc_u64_e32 v[8:9], v[14:15], v[34:35]
	s_branch .LBB4_107
.LBB4_104:                              ;   in Loop: Header=BB4_107 Depth=2
	s_wait_xcnt 0x0
	s_or_b32 exec_lo, exec_lo, s1
	s_delay_alu instid0(VALU_DEP_1)
	v_readfirstlane_b32 s1, v3
	s_cmp_eq_u32 s1, 0
	s_cbranch_scc1 .LBB4_106
; %bb.105:                              ;   in Loop: Header=BB4_107 Depth=2
	s_sleep 1
	s_cbranch_execnz .LBB4_107
	s_branch .LBB4_109
.LBB4_106:                              ;   in Loop: Header=BB4_31 Depth=1
	s_branch .LBB4_109
.LBB4_107:                              ;   Parent Loop BB4_31 Depth=1
                                        ; =>  This Inner Loop Header: Depth=2
	v_mov_b32_e32 v3, 1
	s_and_saveexec_b32 s1, s0
	s_cbranch_execz .LBB4_104
; %bb.108:                              ;   in Loop: Header=BB4_107 Depth=2
	global_load_b32 v3, v[48:49], off offset:20 scope:SCOPE_SYS
	s_wait_loadcnt 0x0
	global_inv scope:SCOPE_SYS
	v_and_b32_e32 v3, 1, v3
	s_branch .LBB4_104
.LBB4_109:                              ;   in Loop: Header=BB4_31 Depth=1
	global_load_b64 v[8:9], v[8:9], off
	s_wait_xcnt 0x0
	s_and_saveexec_b32 s10, s0
	s_cbranch_execz .LBB4_30
; %bb.110:                              ;   in Loop: Header=BB4_31 Depth=1
	s_clause 0x2
	global_load_b64 v[10:11], v35, s[2:3] offset:40
	global_load_b64 v[22:23], v35, s[2:3] offset:24 scope:SCOPE_SYS
	global_load_b64 v[14:15], v35, s[2:3]
	s_wait_loadcnt 0x2
	v_readfirstlane_b32 s12, v10
	v_readfirstlane_b32 s13, v11
	s_add_nc_u64 s[0:1], s[12:13], 1
	s_delay_alu instid0(SALU_CYCLE_1) | instskip(NEXT) | instid1(SALU_CYCLE_1)
	s_add_nc_u64 s[4:5], s[0:1], s[4:5]
	s_cmp_eq_u64 s[4:5], 0
	s_cselect_b32 s1, s1, s5
	s_cselect_b32 s0, s0, s4
	s_delay_alu instid0(SALU_CYCLE_1) | instskip(SKIP_1) | instid1(SALU_CYCLE_1)
	v_dual_mov_b32 v21, s1 :: v_dual_mov_b32 v20, s0
	s_and_b64 s[4:5], s[0:1], s[12:13]
	s_mul_u64 s[4:5], s[4:5], 24
	s_wait_loadcnt 0x0
	v_add_nc_u64_e32 v[10:11], s[4:5], v[14:15]
	global_store_b64 v[10:11], v[22:23], off
	global_wb scope:SCOPE_SYS
	s_wait_storecnt 0x0
	s_wait_xcnt 0x0
	global_atomic_cmpswap_b64 v[20:21], v35, v[20:23], s[2:3] offset:24 th:TH_ATOMIC_RETURN scope:SCOPE_SYS
	s_wait_loadcnt 0x0
	v_cmp_ne_u64_e32 vcc_lo, v[20:21], v[22:23]
	s_and_b32 exec_lo, exec_lo, vcc_lo
	s_cbranch_execz .LBB4_30
; %bb.111:                              ;   in Loop: Header=BB4_31 Depth=1
	s_mov_b32 s4, 0
.LBB4_112:                              ;   Parent Loop BB4_31 Depth=1
                                        ; =>  This Inner Loop Header: Depth=2
	v_dual_mov_b32 v18, s0 :: v_dual_mov_b32 v19, s1
	s_sleep 1
	global_store_b64 v[10:11], v[20:21], off
	global_wb scope:SCOPE_SYS
	s_wait_storecnt 0x0
	s_wait_xcnt 0x0
	global_atomic_cmpswap_b64 v[14:15], v35, v[18:21], s[2:3] offset:24 th:TH_ATOMIC_RETURN scope:SCOPE_SYS
	s_wait_loadcnt 0x0
	v_cmp_eq_u64_e32 vcc_lo, v[14:15], v[20:21]
	v_mov_b64_e32 v[20:21], v[14:15]
	s_or_b32 s4, vcc_lo, s4
	s_delay_alu instid0(SALU_CYCLE_1)
	s_and_not1_b32 exec_lo, exec_lo, s4
	s_cbranch_execnz .LBB4_112
	s_branch .LBB4_30
.LBB4_113:
                                        ; implicit-def: $vgpr8_vgpr9
	s_cbranch_execnz .LBB4_193
.LBB4_114:
	s_get_pc_i64 s[4:5]
	s_add_nc_u64 s[4:5], s[4:5], .str.1@rel64+4
	s_delay_alu instid0(SALU_CYCLE_1)
	s_cmp_lg_u64 s[4:5], 0
	s_cbranch_scc0 .LBB4_221
.LBB4_115:
	v_mov_b64_e32 v[16:17], 0x100000002
	s_get_pc_i64 s[0:1]
	s_add_nc_u64 s[0:1], s[0:1], .str.1@rel64+88
	s_wait_loadcnt 0x0
	v_dual_mov_b32 v15, 0 :: v_dual_bitop2_b32 v0, 2, v8 bitop3:0x40
	v_dual_mov_b32 v11, v9 :: v_dual_bitop2_b32 v10, -3, v8 bitop3:0x40
	s_sub_co_i32 s6, s0, s4
	s_delay_alu instid0(SALU_CYCLE_1)
	s_ashr_i32 s7, s6, 31
	s_branch .LBB4_117
.LBB4_116:                              ;   in Loop: Header=BB4_117 Depth=1
	s_or_b32 exec_lo, exec_lo, s14
	s_sub_nc_u64 s[6:7], s[6:7], s[10:11]
	s_add_nc_u64 s[4:5], s[4:5], s[10:11]
	s_cmp_lg_u64 s[6:7], 0
	s_cbranch_scc0 .LBB4_215
.LBB4_117:                              ; =>This Loop Header: Depth=1
                                        ;     Child Loop BB4_120 Depth 2
                                        ;     Child Loop BB4_127 Depth 2
	;; [unrolled: 1-line block ×11, first 2 shown]
	v_min_u64 v[4:5], s[6:7], 56
	v_cmp_gt_u64_e64 s0, s[6:7], 7
	s_and_b32 vcc_lo, exec_lo, s0
	v_readfirstlane_b32 s10, v4
	v_readfirstlane_b32 s11, v5
	s_cbranch_vccnz .LBB4_122
; %bb.118:                              ;   in Loop: Header=BB4_117 Depth=1
	v_mov_b64_e32 v[12:13], 0
	s_cmp_eq_u64 s[6:7], 0
	s_cbranch_scc1 .LBB4_121
; %bb.119:                              ;   in Loop: Header=BB4_117 Depth=1
	s_mov_b64 s[0:1], 0
	s_mov_b64 s[12:13], 0
.LBB4_120:                              ;   Parent Loop BB4_117 Depth=1
                                        ; =>  This Inner Loop Header: Depth=2
	s_wait_xcnt 0x0
	s_add_nc_u64 s[14:15], s[4:5], s[12:13]
	s_add_nc_u64 s[12:13], s[12:13], 1
	global_load_u8 v1, v15, s[14:15]
	s_cmp_lg_u32 s10, s12
	s_wait_loadcnt 0x0
	v_and_b32_e32 v14, 0xffff, v1
	s_delay_alu instid0(VALU_DEP_1) | instskip(SKIP_1) | instid1(VALU_DEP_1)
	v_lshlrev_b64_e32 v[4:5], s0, v[14:15]
	s_add_nc_u64 s[0:1], s[0:1], 8
	v_or_b32_e32 v12, v4, v12
	s_delay_alu instid0(VALU_DEP_2)
	v_or_b32_e32 v13, v5, v13
	s_cbranch_scc1 .LBB4_120
.LBB4_121:                              ;   in Loop: Header=BB4_117 Depth=1
	s_mov_b64 s[12:13], s[4:5]
	s_mov_b32 s16, 0
	s_cbranch_execz .LBB4_123
	s_branch .LBB4_124
.LBB4_122:                              ;   in Loop: Header=BB4_117 Depth=1
	s_add_nc_u64 s[12:13], s[4:5], 8
	s_mov_b32 s16, 0
.LBB4_123:                              ;   in Loop: Header=BB4_117 Depth=1
	global_load_b64 v[12:13], v15, s[4:5]
	s_add_co_i32 s16, s10, -8
.LBB4_124:                              ;   in Loop: Header=BB4_117 Depth=1
	s_delay_alu instid0(SALU_CYCLE_1)
	s_cmp_gt_u32 s16, 7
	s_cbranch_scc1 .LBB4_129
; %bb.125:                              ;   in Loop: Header=BB4_117 Depth=1
	v_mov_b64_e32 v[18:19], 0
	s_cmp_eq_u32 s16, 0
	s_cbranch_scc1 .LBB4_128
; %bb.126:                              ;   in Loop: Header=BB4_117 Depth=1
	s_mov_b64 s[0:1], 0
	s_wait_xcnt 0x0
	s_mov_b64 s[14:15], 0
.LBB4_127:                              ;   Parent Loop BB4_117 Depth=1
                                        ; =>  This Inner Loop Header: Depth=2
	s_wait_xcnt 0x0
	s_add_nc_u64 s[18:19], s[12:13], s[14:15]
	s_add_nc_u64 s[14:15], s[14:15], 1
	global_load_u8 v1, v15, s[18:19]
	s_cmp_lg_u32 s16, s14
	s_wait_loadcnt 0x0
	v_and_b32_e32 v14, 0xffff, v1
	s_delay_alu instid0(VALU_DEP_1) | instskip(SKIP_1) | instid1(VALU_DEP_1)
	v_lshlrev_b64_e32 v[4:5], s0, v[14:15]
	s_add_nc_u64 s[0:1], s[0:1], 8
	v_or_b32_e32 v18, v4, v18
	s_delay_alu instid0(VALU_DEP_2)
	v_or_b32_e32 v19, v5, v19
	s_cbranch_scc1 .LBB4_127
.LBB4_128:                              ;   in Loop: Header=BB4_117 Depth=1
	s_wait_xcnt 0x0
	s_mov_b64 s[0:1], s[12:13]
	s_mov_b32 s17, 0
	s_cbranch_execz .LBB4_130
	s_branch .LBB4_131
.LBB4_129:                              ;   in Loop: Header=BB4_117 Depth=1
	s_add_nc_u64 s[0:1], s[12:13], 8
	s_wait_xcnt 0x0
                                        ; implicit-def: $vgpr18_vgpr19
	s_mov_b32 s17, 0
.LBB4_130:                              ;   in Loop: Header=BB4_117 Depth=1
	global_load_b64 v[18:19], v15, s[12:13]
	s_add_co_i32 s17, s16, -8
.LBB4_131:                              ;   in Loop: Header=BB4_117 Depth=1
	s_delay_alu instid0(SALU_CYCLE_1)
	s_cmp_gt_u32 s17, 7
	s_cbranch_scc1 .LBB4_136
; %bb.132:                              ;   in Loop: Header=BB4_117 Depth=1
	v_mov_b64_e32 v[20:21], 0
	s_cmp_eq_u32 s17, 0
	s_cbranch_scc1 .LBB4_135
; %bb.133:                              ;   in Loop: Header=BB4_117 Depth=1
	s_wait_xcnt 0x0
	s_mov_b64 s[12:13], 0
	s_mov_b64 s[14:15], 0
.LBB4_134:                              ;   Parent Loop BB4_117 Depth=1
                                        ; =>  This Inner Loop Header: Depth=2
	s_wait_xcnt 0x0
	s_add_nc_u64 s[18:19], s[0:1], s[14:15]
	s_add_nc_u64 s[14:15], s[14:15], 1
	global_load_u8 v1, v15, s[18:19]
	s_cmp_lg_u32 s17, s14
	s_wait_loadcnt 0x0
	v_and_b32_e32 v14, 0xffff, v1
	s_delay_alu instid0(VALU_DEP_1) | instskip(SKIP_1) | instid1(VALU_DEP_1)
	v_lshlrev_b64_e32 v[4:5], s12, v[14:15]
	s_add_nc_u64 s[12:13], s[12:13], 8
	v_or_b32_e32 v20, v4, v20
	s_delay_alu instid0(VALU_DEP_2)
	v_or_b32_e32 v21, v5, v21
	s_cbranch_scc1 .LBB4_134
.LBB4_135:                              ;   in Loop: Header=BB4_117 Depth=1
	s_wait_xcnt 0x0
	s_mov_b64 s[12:13], s[0:1]
	s_mov_b32 s16, 0
	s_cbranch_execz .LBB4_137
	s_branch .LBB4_138
.LBB4_136:                              ;   in Loop: Header=BB4_117 Depth=1
	s_wait_xcnt 0x0
	s_add_nc_u64 s[12:13], s[0:1], 8
	s_mov_b32 s16, 0
.LBB4_137:                              ;   in Loop: Header=BB4_117 Depth=1
	global_load_b64 v[20:21], v15, s[0:1]
	s_add_co_i32 s16, s17, -8
.LBB4_138:                              ;   in Loop: Header=BB4_117 Depth=1
	s_delay_alu instid0(SALU_CYCLE_1)
	s_cmp_gt_u32 s16, 7
	s_cbranch_scc1 .LBB4_143
; %bb.139:                              ;   in Loop: Header=BB4_117 Depth=1
	v_mov_b64_e32 v[22:23], 0
	s_cmp_eq_u32 s16, 0
	s_cbranch_scc1 .LBB4_142
; %bb.140:                              ;   in Loop: Header=BB4_117 Depth=1
	s_wait_xcnt 0x0
	s_mov_b64 s[0:1], 0
	s_mov_b64 s[14:15], 0
.LBB4_141:                              ;   Parent Loop BB4_117 Depth=1
                                        ; =>  This Inner Loop Header: Depth=2
	s_wait_xcnt 0x0
	s_add_nc_u64 s[18:19], s[12:13], s[14:15]
	s_add_nc_u64 s[14:15], s[14:15], 1
	global_load_u8 v1, v15, s[18:19]
	s_cmp_lg_u32 s16, s14
	s_wait_loadcnt 0x0
	v_and_b32_e32 v14, 0xffff, v1
	s_delay_alu instid0(VALU_DEP_1) | instskip(SKIP_1) | instid1(VALU_DEP_1)
	v_lshlrev_b64_e32 v[4:5], s0, v[14:15]
	s_add_nc_u64 s[0:1], s[0:1], 8
	v_or_b32_e32 v22, v4, v22
	s_delay_alu instid0(VALU_DEP_2)
	v_or_b32_e32 v23, v5, v23
	s_cbranch_scc1 .LBB4_141
.LBB4_142:                              ;   in Loop: Header=BB4_117 Depth=1
	s_wait_xcnt 0x0
	s_mov_b64 s[0:1], s[12:13]
	s_mov_b32 s17, 0
	s_cbranch_execz .LBB4_144
	s_branch .LBB4_145
.LBB4_143:                              ;   in Loop: Header=BB4_117 Depth=1
	s_wait_xcnt 0x0
	s_add_nc_u64 s[0:1], s[12:13], 8
                                        ; implicit-def: $vgpr22_vgpr23
	s_mov_b32 s17, 0
.LBB4_144:                              ;   in Loop: Header=BB4_117 Depth=1
	global_load_b64 v[22:23], v15, s[12:13]
	s_add_co_i32 s17, s16, -8
.LBB4_145:                              ;   in Loop: Header=BB4_117 Depth=1
	s_delay_alu instid0(SALU_CYCLE_1)
	s_cmp_gt_u32 s17, 7
	s_cbranch_scc1 .LBB4_150
; %bb.146:                              ;   in Loop: Header=BB4_117 Depth=1
	v_mov_b64_e32 v[24:25], 0
	s_cmp_eq_u32 s17, 0
	s_cbranch_scc1 .LBB4_149
; %bb.147:                              ;   in Loop: Header=BB4_117 Depth=1
	s_wait_xcnt 0x0
	s_mov_b64 s[12:13], 0
	s_mov_b64 s[14:15], 0
.LBB4_148:                              ;   Parent Loop BB4_117 Depth=1
                                        ; =>  This Inner Loop Header: Depth=2
	s_wait_xcnt 0x0
	s_add_nc_u64 s[18:19], s[0:1], s[14:15]
	s_add_nc_u64 s[14:15], s[14:15], 1
	global_load_u8 v1, v15, s[18:19]
	s_cmp_lg_u32 s17, s14
	s_wait_loadcnt 0x0
	v_and_b32_e32 v14, 0xffff, v1
	s_delay_alu instid0(VALU_DEP_1) | instskip(SKIP_1) | instid1(VALU_DEP_1)
	v_lshlrev_b64_e32 v[4:5], s12, v[14:15]
	s_add_nc_u64 s[12:13], s[12:13], 8
	v_or_b32_e32 v24, v4, v24
	s_delay_alu instid0(VALU_DEP_2)
	v_or_b32_e32 v25, v5, v25
	s_cbranch_scc1 .LBB4_148
.LBB4_149:                              ;   in Loop: Header=BB4_117 Depth=1
	s_wait_xcnt 0x0
	s_mov_b64 s[12:13], s[0:1]
	s_mov_b32 s16, 0
	s_cbranch_execz .LBB4_151
	s_branch .LBB4_152
.LBB4_150:                              ;   in Loop: Header=BB4_117 Depth=1
	s_wait_xcnt 0x0
	s_add_nc_u64 s[12:13], s[0:1], 8
	s_mov_b32 s16, 0
.LBB4_151:                              ;   in Loop: Header=BB4_117 Depth=1
	global_load_b64 v[24:25], v15, s[0:1]
	s_add_co_i32 s16, s17, -8
.LBB4_152:                              ;   in Loop: Header=BB4_117 Depth=1
	s_delay_alu instid0(SALU_CYCLE_1)
	s_cmp_gt_u32 s16, 7
	s_cbranch_scc1 .LBB4_157
; %bb.153:                              ;   in Loop: Header=BB4_117 Depth=1
	v_mov_b64_e32 v[26:27], 0
	s_cmp_eq_u32 s16, 0
	s_cbranch_scc1 .LBB4_156
; %bb.154:                              ;   in Loop: Header=BB4_117 Depth=1
	s_wait_xcnt 0x0
	s_mov_b64 s[0:1], 0
	s_mov_b64 s[14:15], 0
.LBB4_155:                              ;   Parent Loop BB4_117 Depth=1
                                        ; =>  This Inner Loop Header: Depth=2
	s_wait_xcnt 0x0
	s_add_nc_u64 s[18:19], s[12:13], s[14:15]
	s_add_nc_u64 s[14:15], s[14:15], 1
	global_load_u8 v1, v15, s[18:19]
	s_cmp_lg_u32 s16, s14
	s_wait_loadcnt 0x0
	v_and_b32_e32 v14, 0xffff, v1
	s_delay_alu instid0(VALU_DEP_1) | instskip(SKIP_1) | instid1(VALU_DEP_1)
	v_lshlrev_b64_e32 v[4:5], s0, v[14:15]
	s_add_nc_u64 s[0:1], s[0:1], 8
	v_or_b32_e32 v26, v4, v26
	s_delay_alu instid0(VALU_DEP_2)
	v_or_b32_e32 v27, v5, v27
	s_cbranch_scc1 .LBB4_155
.LBB4_156:                              ;   in Loop: Header=BB4_117 Depth=1
	s_wait_xcnt 0x0
	s_mov_b64 s[0:1], s[12:13]
	s_mov_b32 s17, 0
	s_cbranch_execz .LBB4_158
	s_branch .LBB4_159
.LBB4_157:                              ;   in Loop: Header=BB4_117 Depth=1
	s_wait_xcnt 0x0
	s_add_nc_u64 s[0:1], s[12:13], 8
                                        ; implicit-def: $vgpr26_vgpr27
	s_mov_b32 s17, 0
.LBB4_158:                              ;   in Loop: Header=BB4_117 Depth=1
	global_load_b64 v[26:27], v15, s[12:13]
	s_add_co_i32 s17, s16, -8
.LBB4_159:                              ;   in Loop: Header=BB4_117 Depth=1
	s_delay_alu instid0(SALU_CYCLE_1)
	s_cmp_gt_u32 s17, 7
	s_cbranch_scc1 .LBB4_164
; %bb.160:                              ;   in Loop: Header=BB4_117 Depth=1
	v_mov_b64_e32 v[28:29], 0
	s_cmp_eq_u32 s17, 0
	s_cbranch_scc1 .LBB4_163
; %bb.161:                              ;   in Loop: Header=BB4_117 Depth=1
	s_wait_xcnt 0x0
	s_mov_b64 s[12:13], 0
	s_mov_b64 s[14:15], s[0:1]
.LBB4_162:                              ;   Parent Loop BB4_117 Depth=1
                                        ; =>  This Inner Loop Header: Depth=2
	global_load_u8 v1, v15, s[14:15]
	s_add_co_i32 s17, s17, -1
	s_wait_xcnt 0x0
	s_add_nc_u64 s[14:15], s[14:15], 1
	s_cmp_lg_u32 s17, 0
	s_wait_loadcnt 0x0
	v_and_b32_e32 v14, 0xffff, v1
	s_delay_alu instid0(VALU_DEP_1) | instskip(SKIP_1) | instid1(VALU_DEP_1)
	v_lshlrev_b64_e32 v[4:5], s12, v[14:15]
	s_add_nc_u64 s[12:13], s[12:13], 8
	v_or_b32_e32 v28, v4, v28
	s_delay_alu instid0(VALU_DEP_2)
	v_or_b32_e32 v29, v5, v29
	s_cbranch_scc1 .LBB4_162
.LBB4_163:                              ;   in Loop: Header=BB4_117 Depth=1
	s_wait_xcnt 0x0
	s_cbranch_execz .LBB4_165
	s_branch .LBB4_166
.LBB4_164:                              ;   in Loop: Header=BB4_117 Depth=1
	s_wait_xcnt 0x0
.LBB4_165:                              ;   in Loop: Header=BB4_117 Depth=1
	global_load_b64 v[28:29], v15, s[0:1]
.LBB4_166:                              ;   in Loop: Header=BB4_117 Depth=1
	s_wait_xcnt 0x0
	v_readfirstlane_b32 s0, v52
	v_mov_b64_e32 v[4:5], 0
	s_delay_alu instid0(VALU_DEP_2)
	v_cmp_eq_u32_e64 s0, s0, v52
	s_and_saveexec_b32 s1, s0
	s_cbranch_execz .LBB4_172
; %bb.167:                              ;   in Loop: Header=BB4_117 Depth=1
	global_load_b64 v[32:33], v15, s[2:3] offset:24 scope:SCOPE_SYS
	s_wait_loadcnt 0x0
	global_inv scope:SCOPE_SYS
	s_clause 0x1
	global_load_b64 v[4:5], v15, s[2:3] offset:40
	global_load_b64 v[30:31], v15, s[2:3]
	s_mov_b32 s12, exec_lo
	s_wait_loadcnt 0x1
	v_and_b32_e32 v4, v4, v32
	v_and_b32_e32 v5, v5, v33
	s_delay_alu instid0(VALU_DEP_1) | instskip(SKIP_1) | instid1(VALU_DEP_1)
	v_mul_u64_e32 v[4:5], 24, v[4:5]
	s_wait_loadcnt 0x0
	v_add_nc_u64_e32 v[4:5], v[30:31], v[4:5]
	global_load_b64 v[30:31], v[4:5], off scope:SCOPE_SYS
	s_wait_xcnt 0x0
	s_wait_loadcnt 0x0
	global_atomic_cmpswap_b64 v[4:5], v15, v[30:33], s[2:3] offset:24 th:TH_ATOMIC_RETURN scope:SCOPE_SYS
	s_wait_loadcnt 0x0
	global_inv scope:SCOPE_SYS
	s_wait_xcnt 0x0
	v_cmpx_ne_u64_e64 v[4:5], v[32:33]
	s_cbranch_execz .LBB4_171
; %bb.168:                              ;   in Loop: Header=BB4_117 Depth=1
	s_mov_b32 s13, 0
.LBB4_169:                              ;   Parent Loop BB4_117 Depth=1
                                        ; =>  This Inner Loop Header: Depth=2
	s_sleep 1
	s_clause 0x1
	global_load_b64 v[30:31], v15, s[2:3] offset:40
	global_load_b64 v[38:39], v15, s[2:3]
	v_mov_b64_e32 v[32:33], v[4:5]
	s_wait_loadcnt 0x1
	s_delay_alu instid0(VALU_DEP_1) | instskip(SKIP_1) | instid1(VALU_DEP_1)
	v_and_b32_e32 v1, v30, v32
	s_wait_loadcnt 0x0
	v_mad_nc_u64_u32 v[4:5], v1, 24, v[38:39]
	s_delay_alu instid0(VALU_DEP_3) | instskip(NEXT) | instid1(VALU_DEP_1)
	v_and_b32_e32 v1, v31, v33
	v_mad_u32 v5, v1, 24, v5
	global_load_b64 v[30:31], v[4:5], off scope:SCOPE_SYS
	s_wait_xcnt 0x0
	s_wait_loadcnt 0x0
	global_atomic_cmpswap_b64 v[4:5], v15, v[30:33], s[2:3] offset:24 th:TH_ATOMIC_RETURN scope:SCOPE_SYS
	s_wait_loadcnt 0x0
	global_inv scope:SCOPE_SYS
	v_cmp_eq_u64_e32 vcc_lo, v[4:5], v[32:33]
	s_or_b32 s13, vcc_lo, s13
	s_wait_xcnt 0x0
	s_and_not1_b32 exec_lo, exec_lo, s13
	s_cbranch_execnz .LBB4_169
; %bb.170:                              ;   in Loop: Header=BB4_117 Depth=1
	s_or_b32 exec_lo, exec_lo, s13
.LBB4_171:                              ;   in Loop: Header=BB4_117 Depth=1
	s_delay_alu instid0(SALU_CYCLE_1)
	s_or_b32 exec_lo, exec_lo, s12
.LBB4_172:                              ;   in Loop: Header=BB4_117 Depth=1
	s_delay_alu instid0(SALU_CYCLE_1)
	s_or_b32 exec_lo, exec_lo, s1
	s_clause 0x1
	global_load_b64 v[38:39], v15, s[2:3] offset:40
	global_load_b128 v[30:33], v15, s[2:3]
	v_readfirstlane_b32 s12, v4
	v_readfirstlane_b32 s13, v5
	s_mov_b32 s1, exec_lo
	s_wait_loadcnt 0x1
	v_and_b32_e32 v38, s12, v38
	v_and_b32_e32 v39, s13, v39
	s_delay_alu instid0(VALU_DEP_1) | instskip(SKIP_1) | instid1(VALU_DEP_1)
	v_mul_u64_e32 v[4:5], 24, v[38:39]
	s_wait_loadcnt 0x0
	v_add_nc_u64_e32 v[4:5], v[30:31], v[4:5]
	s_wait_xcnt 0x0
	s_and_saveexec_b32 s14, s0
	s_cbranch_execz .LBB4_174
; %bb.173:                              ;   in Loop: Header=BB4_117 Depth=1
	v_mov_b32_e32 v14, s1
	global_store_b128 v[4:5], v[14:17], off offset:8
.LBB4_174:                              ;   in Loop: Header=BB4_117 Depth=1
	s_wait_xcnt 0x0
	s_or_b32 exec_lo, exec_lo, s14
	v_cmp_lt_u64_e64 vcc_lo, s[6:7], 57
	v_lshlrev_b64_e32 v[38:39], 12, v[38:39]
	v_and_b32_e32 v3, 0xffffff1f, v10
	s_lshl_b32 s1, s10, 2
	s_delay_alu instid0(SALU_CYCLE_1) | instskip(SKIP_1) | instid1(VALU_DEP_3)
	s_add_co_i32 s1, s1, 28
	v_cndmask_b32_e32 v1, 0, v0, vcc_lo
	v_add_nc_u64_e32 v[32:33], v[32:33], v[38:39]
	s_delay_alu instid0(VALU_DEP_2) | instskip(NEXT) | instid1(VALU_DEP_2)
	v_or_b32_e32 v1, v3, v1
	v_readfirstlane_b32 s14, v32
	s_delay_alu instid0(VALU_DEP_3) | instskip(NEXT) | instid1(VALU_DEP_3)
	v_readfirstlane_b32 s15, v33
	v_and_or_b32 v10, 0x1e0, s1, v1
	s_clause 0x3
	global_store_b128 v34, v[10:13], s[14:15]
	global_store_b128 v34, v[18:21], s[14:15] offset:16
	global_store_b128 v34, v[22:25], s[14:15] offset:32
	;; [unrolled: 1-line block ×3, first 2 shown]
	s_wait_xcnt 0x0
	s_and_saveexec_b32 s1, s0
	s_cbranch_execz .LBB4_182
; %bb.175:                              ;   in Loop: Header=BB4_117 Depth=1
	s_clause 0x1
	global_load_b64 v[22:23], v15, s[2:3] offset:32 scope:SCOPE_SYS
	global_load_b64 v[10:11], v15, s[2:3] offset:40
	s_mov_b32 s14, exec_lo
	v_dual_mov_b32 v20, s12 :: v_dual_mov_b32 v21, s13
	s_wait_loadcnt 0x0
	v_and_b32_e32 v11, s13, v11
	v_and_b32_e32 v10, s12, v10
	s_delay_alu instid0(VALU_DEP_1) | instskip(NEXT) | instid1(VALU_DEP_1)
	v_mul_u64_e32 v[10:11], 24, v[10:11]
	v_add_nc_u64_e32 v[18:19], v[30:31], v[10:11]
	global_store_b64 v[18:19], v[22:23], off
	global_wb scope:SCOPE_SYS
	s_wait_storecnt 0x0
	s_wait_xcnt 0x0
	global_atomic_cmpswap_b64 v[12:13], v15, v[20:23], s[2:3] offset:32 th:TH_ATOMIC_RETURN scope:SCOPE_SYS
	s_wait_loadcnt 0x0
	v_cmpx_ne_u64_e64 v[12:13], v[22:23]
	s_cbranch_execz .LBB4_178
; %bb.176:                              ;   in Loop: Header=BB4_117 Depth=1
	s_mov_b32 s15, 0
.LBB4_177:                              ;   Parent Loop BB4_117 Depth=1
                                        ; =>  This Inner Loop Header: Depth=2
	v_dual_mov_b32 v10, s12 :: v_dual_mov_b32 v11, s13
	s_sleep 1
	global_store_b64 v[18:19], v[12:13], off
	global_wb scope:SCOPE_SYS
	s_wait_storecnt 0x0
	s_wait_xcnt 0x0
	global_atomic_cmpswap_b64 v[10:11], v15, v[10:13], s[2:3] offset:32 th:TH_ATOMIC_RETURN scope:SCOPE_SYS
	s_wait_loadcnt 0x0
	v_cmp_eq_u64_e32 vcc_lo, v[10:11], v[12:13]
	v_mov_b64_e32 v[12:13], v[10:11]
	s_or_b32 s15, vcc_lo, s15
	s_delay_alu instid0(SALU_CYCLE_1)
	s_and_not1_b32 exec_lo, exec_lo, s15
	s_cbranch_execnz .LBB4_177
.LBB4_178:                              ;   in Loop: Header=BB4_117 Depth=1
	s_or_b32 exec_lo, exec_lo, s14
	global_load_b64 v[10:11], v15, s[2:3] offset:16
	s_mov_b32 s15, exec_lo
	s_mov_b32 s14, exec_lo
	v_mbcnt_lo_u32_b32 v1, s15, 0
	s_wait_xcnt 0x0
	s_delay_alu instid0(VALU_DEP_1)
	v_cmpx_eq_u32_e32 0, v1
	s_cbranch_execz .LBB4_180
; %bb.179:                              ;   in Loop: Header=BB4_117 Depth=1
	s_bcnt1_i32_b32 s15, s15
	s_delay_alu instid0(SALU_CYCLE_1)
	v_mov_b32_e32 v14, s15
	global_wb scope:SCOPE_SYS
	s_wait_loadcnt 0x0
	s_wait_storecnt 0x0
	global_atomic_add_u64 v[10:11], v[14:15], off offset:8 scope:SCOPE_SYS
.LBB4_180:                              ;   in Loop: Header=BB4_117 Depth=1
	s_wait_xcnt 0x0
	s_or_b32 exec_lo, exec_lo, s14
	s_wait_loadcnt 0x0
	global_load_b64 v[12:13], v[10:11], off offset:16
	s_wait_loadcnt 0x0
	v_cmp_eq_u64_e32 vcc_lo, 0, v[12:13]
	s_cbranch_vccnz .LBB4_182
; %bb.181:                              ;   in Loop: Header=BB4_117 Depth=1
	global_load_b32 v14, v[10:11], off offset:24
	s_wait_loadcnt 0x0
	v_readfirstlane_b32 s14, v14
	global_wb scope:SCOPE_SYS
	s_wait_storecnt 0x0
	s_wait_xcnt 0x0
	global_store_b64 v[12:13], v[14:15], off scope:SCOPE_SYS
	s_and_b32 m0, s14, 0xffffff
	s_sendmsg sendmsg(MSG_INTERRUPT)
.LBB4_182:                              ;   in Loop: Header=BB4_117 Depth=1
	s_wait_xcnt 0x0
	s_or_b32 exec_lo, exec_lo, s1
	v_mov_b32_e32 v35, v15
	s_delay_alu instid0(VALU_DEP_1)
	v_add_nc_u64_e32 v[10:11], v[32:33], v[34:35]
	s_branch .LBB4_186
.LBB4_183:                              ;   in Loop: Header=BB4_186 Depth=2
	s_wait_xcnt 0x0
	s_or_b32 exec_lo, exec_lo, s1
	s_delay_alu instid0(VALU_DEP_1)
	v_readfirstlane_b32 s1, v1
	s_cmp_eq_u32 s1, 0
	s_cbranch_scc1 .LBB4_185
; %bb.184:                              ;   in Loop: Header=BB4_186 Depth=2
	s_sleep 1
	s_cbranch_execnz .LBB4_186
	s_branch .LBB4_188
.LBB4_185:                              ;   in Loop: Header=BB4_117 Depth=1
	s_branch .LBB4_188
.LBB4_186:                              ;   Parent Loop BB4_117 Depth=1
                                        ; =>  This Inner Loop Header: Depth=2
	v_mov_b32_e32 v1, 1
	s_and_saveexec_b32 s1, s0
	s_cbranch_execz .LBB4_183
; %bb.187:                              ;   in Loop: Header=BB4_186 Depth=2
	global_load_b32 v1, v[4:5], off offset:20 scope:SCOPE_SYS
	s_wait_loadcnt 0x0
	global_inv scope:SCOPE_SYS
	v_and_b32_e32 v1, 1, v1
	s_branch .LBB4_183
.LBB4_188:                              ;   in Loop: Header=BB4_117 Depth=1
	global_load_b64 v[10:11], v[10:11], off
	s_wait_xcnt 0x0
	s_and_saveexec_b32 s14, s0
	s_cbranch_execz .LBB4_116
; %bb.189:                              ;   in Loop: Header=BB4_117 Depth=1
	s_clause 0x2
	global_load_b64 v[4:5], v15, s[2:3] offset:40
	global_load_b64 v[22:23], v15, s[2:3] offset:24 scope:SCOPE_SYS
	global_load_b64 v[12:13], v15, s[2:3]
	s_wait_loadcnt 0x2
	v_readfirstlane_b32 s16, v4
	v_readfirstlane_b32 s17, v5
	s_add_nc_u64 s[0:1], s[16:17], 1
	s_delay_alu instid0(SALU_CYCLE_1) | instskip(NEXT) | instid1(SALU_CYCLE_1)
	s_add_nc_u64 s[12:13], s[0:1], s[12:13]
	s_cmp_eq_u64 s[12:13], 0
	s_cselect_b32 s1, s1, s13
	s_cselect_b32 s0, s0, s12
	s_delay_alu instid0(SALU_CYCLE_1) | instskip(SKIP_1) | instid1(SALU_CYCLE_1)
	v_dual_mov_b32 v21, s1 :: v_dual_mov_b32 v20, s0
	s_and_b64 s[12:13], s[0:1], s[16:17]
	s_mul_u64 s[12:13], s[12:13], 24
	s_wait_loadcnt 0x0
	v_add_nc_u64_e32 v[4:5], s[12:13], v[12:13]
	global_store_b64 v[4:5], v[22:23], off
	global_wb scope:SCOPE_SYS
	s_wait_storecnt 0x0
	s_wait_xcnt 0x0
	global_atomic_cmpswap_b64 v[20:21], v15, v[20:23], s[2:3] offset:24 th:TH_ATOMIC_RETURN scope:SCOPE_SYS
	s_wait_loadcnt 0x0
	v_cmp_ne_u64_e32 vcc_lo, v[20:21], v[22:23]
	s_and_b32 exec_lo, exec_lo, vcc_lo
	s_cbranch_execz .LBB4_116
; %bb.190:                              ;   in Loop: Header=BB4_117 Depth=1
	s_mov_b32 s12, 0
.LBB4_191:                              ;   Parent Loop BB4_117 Depth=1
                                        ; =>  This Inner Loop Header: Depth=2
	v_dual_mov_b32 v18, s0 :: v_dual_mov_b32 v19, s1
	s_sleep 1
	global_store_b64 v[4:5], v[20:21], off
	global_wb scope:SCOPE_SYS
	s_wait_storecnt 0x0
	s_wait_xcnt 0x0
	global_atomic_cmpswap_b64 v[12:13], v15, v[18:21], s[2:3] offset:24 th:TH_ATOMIC_RETURN scope:SCOPE_SYS
	s_wait_loadcnt 0x0
	v_cmp_eq_u64_e32 vcc_lo, v[12:13], v[20:21]
	v_mov_b64_e32 v[20:21], v[12:13]
	s_or_b32 s12, vcc_lo, s12
	s_delay_alu instid0(SALU_CYCLE_1)
	s_and_not1_b32 exec_lo, exec_lo, s12
	s_cbranch_execnz .LBB4_191
	s_branch .LBB4_116
.LBB4_192:
	s_or_b32 exec_lo, exec_lo, s6
	s_branch .LBB4_114
.LBB4_193:
	v_readfirstlane_b32 s0, v52
	v_mov_b64_e32 v[0:1], 0
	s_delay_alu instid0(VALU_DEP_2)
	v_cmp_eq_u32_e64 s0, s0, v52
	s_and_saveexec_b32 s1, s0
	s_cbranch_execz .LBB4_199
; %bb.194:
	v_mov_b32_e32 v3, 0
	s_mov_b32 s4, exec_lo
	global_load_b64 v[10:11], v3, s[2:3] offset:24 scope:SCOPE_SYS
	s_wait_loadcnt 0x0
	global_inv scope:SCOPE_SYS
	s_clause 0x1
	global_load_b64 v[0:1], v3, s[2:3] offset:40
	global_load_b64 v[4:5], v3, s[2:3]
	s_wait_loadcnt 0x1
	v_and_b32_e32 v0, v0, v10
	v_and_b32_e32 v1, v1, v11
	s_delay_alu instid0(VALU_DEP_1) | instskip(SKIP_1) | instid1(VALU_DEP_1)
	v_mul_u64_e32 v[0:1], 24, v[0:1]
	s_wait_loadcnt 0x0
	v_add_nc_u64_e32 v[0:1], v[4:5], v[0:1]
	global_load_b64 v[8:9], v[0:1], off scope:SCOPE_SYS
	s_wait_xcnt 0x0
	s_wait_loadcnt 0x0
	global_atomic_cmpswap_b64 v[0:1], v3, v[8:11], s[2:3] offset:24 th:TH_ATOMIC_RETURN scope:SCOPE_SYS
	s_wait_loadcnt 0x0
	global_inv scope:SCOPE_SYS
	s_wait_xcnt 0x0
	v_cmpx_ne_u64_e64 v[0:1], v[10:11]
	s_cbranch_execz .LBB4_198
; %bb.195:
	s_mov_b32 s5, 0
.LBB4_196:                              ; =>This Inner Loop Header: Depth=1
	s_sleep 1
	s_clause 0x1
	global_load_b64 v[4:5], v3, s[2:3] offset:40
	global_load_b64 v[8:9], v3, s[2:3]
	v_mov_b64_e32 v[10:11], v[0:1]
	s_wait_loadcnt 0x1
	s_delay_alu instid0(VALU_DEP_1) | instskip(NEXT) | instid1(VALU_DEP_2)
	v_and_b32_e32 v0, v4, v10
	v_and_b32_e32 v4, v5, v11
	s_wait_loadcnt 0x0
	s_delay_alu instid0(VALU_DEP_2) | instskip(NEXT) | instid1(VALU_DEP_1)
	v_mad_nc_u64_u32 v[0:1], v0, 24, v[8:9]
	v_mad_u32 v1, v4, 24, v1
	global_load_b64 v[8:9], v[0:1], off scope:SCOPE_SYS
	s_wait_xcnt 0x0
	s_wait_loadcnt 0x0
	global_atomic_cmpswap_b64 v[0:1], v3, v[8:11], s[2:3] offset:24 th:TH_ATOMIC_RETURN scope:SCOPE_SYS
	s_wait_loadcnt 0x0
	global_inv scope:SCOPE_SYS
	v_cmp_eq_u64_e32 vcc_lo, v[0:1], v[10:11]
	s_or_b32 s5, vcc_lo, s5
	s_wait_xcnt 0x0
	s_and_not1_b32 exec_lo, exec_lo, s5
	s_cbranch_execnz .LBB4_196
; %bb.197:
	s_or_b32 exec_lo, exec_lo, s5
.LBB4_198:
	s_delay_alu instid0(SALU_CYCLE_1)
	s_or_b32 exec_lo, exec_lo, s4
.LBB4_199:
	s_delay_alu instid0(SALU_CYCLE_1)
	s_or_b32 exec_lo, exec_lo, s1
	v_readfirstlane_b32 s4, v0
	v_mov_b32_e32 v35, 0
	v_readfirstlane_b32 s5, v1
	s_mov_b32 s1, exec_lo
	global_load_b64 v[4:5], v35, s[2:3] offset:40
	s_wait_loadcnt 0x1
	global_load_b128 v[8:11], v35, s[2:3]
	s_wait_loadcnt 0x1
	v_and_b32_e32 v4, s4, v4
	v_and_b32_e32 v5, s5, v5
	s_delay_alu instid0(VALU_DEP_1) | instskip(SKIP_1) | instid1(VALU_DEP_1)
	v_mul_u64_e32 v[0:1], 24, v[4:5]
	s_wait_loadcnt 0x0
	v_add_nc_u64_e32 v[0:1], v[8:9], v[0:1]
	s_wait_xcnt 0x0
	s_and_saveexec_b32 s6, s0
	s_cbranch_execz .LBB4_201
; %bb.200:
	v_mov_b64_e32 v[16:17], 0x100000002
	v_dual_mov_b32 v14, s1 :: v_dual_mov_b32 v15, v35
	global_store_b128 v[0:1], v[14:17], off offset:8
.LBB4_201:
	s_wait_xcnt 0x0
	s_or_b32 exec_lo, exec_lo, s6
	v_lshlrev_b64_e32 v[4:5], 12, v[4:5]
	s_mov_b32 s12, 0
	v_and_or_b32 v12, 0xffffff1f, v12, 32
	s_mov_b32 s14, s12
	s_mov_b32 s15, s12
	;; [unrolled: 1-line block ×3, first 2 shown]
	v_mov_b64_e32 v[18:19], s[14:15]
	v_add_nc_u64_e32 v[4:5], v[10:11], v[4:5]
	v_mov_b64_e32 v[16:17], s[12:13]
	v_dual_mov_b32 v14, v35 :: v_dual_mov_b32 v15, v35
	s_delay_alu instid0(VALU_DEP_3) | instskip(NEXT) | instid1(VALU_DEP_4)
	v_readfirstlane_b32 s6, v4
	v_readfirstlane_b32 s7, v5
	s_clause 0x3
	global_store_b128 v34, v[12:15], s[6:7]
	global_store_b128 v34, v[16:19], s[6:7] offset:16
	global_store_b128 v34, v[16:19], s[6:7] offset:32
	;; [unrolled: 1-line block ×3, first 2 shown]
	s_wait_xcnt 0x0
	s_and_saveexec_b32 s1, s0
	s_cbranch_execz .LBB4_209
; %bb.202:
	v_dual_mov_b32 v3, 0 :: v_dual_mov_b32 v15, s5
	s_mov_b32 s6, exec_lo
	s_clause 0x1
	global_load_b64 v[16:17], v3, s[2:3] offset:32 scope:SCOPE_SYS
	global_load_b64 v[10:11], v3, s[2:3] offset:40
	s_wait_loadcnt 0x0
	v_dual_mov_b32 v14, s4 :: v_dual_bitop2_b32 v11, s5, v11 bitop3:0x40
	v_and_b32_e32 v10, s4, v10
	s_delay_alu instid0(VALU_DEP_1) | instskip(NEXT) | instid1(VALU_DEP_1)
	v_mul_u64_e32 v[10:11], 24, v[10:11]
	v_add_nc_u64_e32 v[12:13], v[8:9], v[10:11]
	global_store_b64 v[12:13], v[16:17], off
	global_wb scope:SCOPE_SYS
	s_wait_storecnt 0x0
	s_wait_xcnt 0x0
	global_atomic_cmpswap_b64 v[10:11], v3, v[14:17], s[2:3] offset:32 th:TH_ATOMIC_RETURN scope:SCOPE_SYS
	s_wait_loadcnt 0x0
	v_cmpx_ne_u64_e64 v[10:11], v[16:17]
	s_cbranch_execz .LBB4_205
; %bb.203:
	s_mov_b32 s7, 0
.LBB4_204:                              ; =>This Inner Loop Header: Depth=1
	v_dual_mov_b32 v8, s4 :: v_dual_mov_b32 v9, s5
	s_sleep 1
	global_store_b64 v[12:13], v[10:11], off
	global_wb scope:SCOPE_SYS
	s_wait_storecnt 0x0
	s_wait_xcnt 0x0
	global_atomic_cmpswap_b64 v[8:9], v3, v[8:11], s[2:3] offset:32 th:TH_ATOMIC_RETURN scope:SCOPE_SYS
	s_wait_loadcnt 0x0
	v_cmp_eq_u64_e32 vcc_lo, v[8:9], v[10:11]
	v_mov_b64_e32 v[10:11], v[8:9]
	s_or_b32 s7, vcc_lo, s7
	s_delay_alu instid0(SALU_CYCLE_1)
	s_and_not1_b32 exec_lo, exec_lo, s7
	s_cbranch_execnz .LBB4_204
.LBB4_205:
	s_or_b32 exec_lo, exec_lo, s6
	v_mov_b32_e32 v11, 0
	s_mov_b32 s7, exec_lo
	s_mov_b32 s6, exec_lo
	v_mbcnt_lo_u32_b32 v3, s7, 0
	global_load_b64 v[8:9], v11, s[2:3] offset:16
	s_wait_xcnt 0x0
	v_cmpx_eq_u32_e32 0, v3
	s_cbranch_execz .LBB4_207
; %bb.206:
	s_bcnt1_i32_b32 s7, s7
	s_delay_alu instid0(SALU_CYCLE_1)
	v_mov_b32_e32 v10, s7
	global_wb scope:SCOPE_SYS
	s_wait_loadcnt 0x0
	s_wait_storecnt 0x0
	global_atomic_add_u64 v[8:9], v[10:11], off offset:8 scope:SCOPE_SYS
.LBB4_207:
	s_wait_xcnt 0x0
	s_or_b32 exec_lo, exec_lo, s6
	s_wait_loadcnt 0x0
	global_load_b64 v[10:11], v[8:9], off offset:16
	s_wait_loadcnt 0x0
	v_cmp_eq_u64_e32 vcc_lo, 0, v[10:11]
	s_cbranch_vccnz .LBB4_209
; %bb.208:
	global_load_b32 v8, v[8:9], off offset:24
	s_wait_xcnt 0x0
	v_mov_b32_e32 v9, 0
	s_wait_loadcnt 0x0
	v_readfirstlane_b32 s6, v8
	global_wb scope:SCOPE_SYS
	s_wait_storecnt 0x0
	global_store_b64 v[10:11], v[8:9], off scope:SCOPE_SYS
	s_and_b32 m0, s6, 0xffffff
	s_sendmsg sendmsg(MSG_INTERRUPT)
.LBB4_209:
	s_wait_xcnt 0x0
	s_or_b32 exec_lo, exec_lo, s1
	v_add_nc_u64_e32 v[4:5], v[4:5], v[34:35]
	s_branch .LBB4_213
.LBB4_210:                              ;   in Loop: Header=BB4_213 Depth=1
	s_wait_xcnt 0x0
	s_or_b32 exec_lo, exec_lo, s1
	s_delay_alu instid0(VALU_DEP_1)
	v_readfirstlane_b32 s1, v3
	s_cmp_eq_u32 s1, 0
	s_cbranch_scc1 .LBB4_212
; %bb.211:                              ;   in Loop: Header=BB4_213 Depth=1
	s_sleep 1
	s_cbranch_execnz .LBB4_213
	s_branch .LBB4_216
.LBB4_212:
	s_branch .LBB4_216
.LBB4_213:                              ; =>This Inner Loop Header: Depth=1
	v_mov_b32_e32 v3, 1
	s_and_saveexec_b32 s1, s0
	s_cbranch_execz .LBB4_210
; %bb.214:                              ;   in Loop: Header=BB4_213 Depth=1
	global_load_b32 v3, v[0:1], off offset:20 scope:SCOPE_SYS
	s_wait_loadcnt 0x0
	global_inv scope:SCOPE_SYS
	v_and_b32_e32 v3, 1, v3
	s_branch .LBB4_210
.LBB4_215:
	s_branch .LBB4_249
.LBB4_216:
	global_load_b64 v[8:9], v[4:5], off
	s_wait_xcnt 0x0
	s_and_saveexec_b32 s6, s0
	s_cbranch_execz .LBB4_220
; %bb.217:
	v_mov_b32_e32 v3, 0
	s_clause 0x2
	global_load_b64 v[0:1], v3, s[2:3] offset:40
	global_load_b64 v[14:15], v3, s[2:3] offset:24 scope:SCOPE_SYS
	global_load_b64 v[4:5], v3, s[2:3]
	s_wait_loadcnt 0x2
	v_readfirstlane_b32 s10, v0
	v_readfirstlane_b32 s11, v1
	s_add_nc_u64 s[0:1], s[10:11], 1
	s_delay_alu instid0(SALU_CYCLE_1) | instskip(NEXT) | instid1(SALU_CYCLE_1)
	s_add_nc_u64 s[4:5], s[0:1], s[4:5]
	s_cmp_eq_u64 s[4:5], 0
	s_cselect_b32 s1, s1, s5
	s_cselect_b32 s0, s0, s4
	v_mov_b32_e32 v13, s1
	s_and_b64 s[4:5], s[0:1], s[10:11]
	v_mov_b32_e32 v12, s0
	s_mul_u64 s[4:5], s[4:5], 24
	s_wait_loadcnt 0x0
	v_add_nc_u64_e32 v[0:1], s[4:5], v[4:5]
	global_store_b64 v[0:1], v[14:15], off
	global_wb scope:SCOPE_SYS
	s_wait_storecnt 0x0
	s_wait_xcnt 0x0
	global_atomic_cmpswap_b64 v[12:13], v3, v[12:15], s[2:3] offset:24 th:TH_ATOMIC_RETURN scope:SCOPE_SYS
	s_wait_loadcnt 0x0
	v_cmp_ne_u64_e32 vcc_lo, v[12:13], v[14:15]
	s_and_b32 exec_lo, exec_lo, vcc_lo
	s_cbranch_execz .LBB4_220
; %bb.218:
	s_mov_b32 s4, 0
.LBB4_219:                              ; =>This Inner Loop Header: Depth=1
	v_dual_mov_b32 v10, s0 :: v_dual_mov_b32 v11, s1
	s_sleep 1
	global_store_b64 v[0:1], v[12:13], off
	global_wb scope:SCOPE_SYS
	s_wait_storecnt 0x0
	s_wait_xcnt 0x0
	global_atomic_cmpswap_b64 v[4:5], v3, v[10:13], s[2:3] offset:24 th:TH_ATOMIC_RETURN scope:SCOPE_SYS
	s_wait_loadcnt 0x0
	v_cmp_eq_u64_e32 vcc_lo, v[4:5], v[12:13]
	v_mov_b64_e32 v[12:13], v[4:5]
	s_or_b32 s4, vcc_lo, s4
	s_delay_alu instid0(SALU_CYCLE_1)
	s_and_not1_b32 exec_lo, exec_lo, s4
	s_cbranch_execnz .LBB4_219
.LBB4_220:
	s_or_b32 exec_lo, exec_lo, s6
	s_get_pc_i64 s[4:5]
	s_add_nc_u64 s[4:5], s[4:5], .str.1@rel64+4
	s_delay_alu instid0(SALU_CYCLE_1)
	s_cmp_lg_u64 s[4:5], 0
	s_cbranch_scc1 .LBB4_115
.LBB4_221:
                                        ; implicit-def: $vgpr10_vgpr11
	s_cbranch_execz .LBB4_249
; %bb.222:
	v_readfirstlane_b32 s0, v52
	v_mov_b64_e32 v[0:1], 0
	s_delay_alu instid0(VALU_DEP_2)
	v_cmp_eq_u32_e64 s0, s0, v52
	s_and_saveexec_b32 s1, s0
	s_cbranch_execz .LBB4_228
; %bb.223:
	v_mov_b32_e32 v3, 0
	s_mov_b32 s4, exec_lo
	global_load_b64 v[12:13], v3, s[2:3] offset:24 scope:SCOPE_SYS
	s_wait_loadcnt 0x0
	global_inv scope:SCOPE_SYS
	s_clause 0x1
	global_load_b64 v[0:1], v3, s[2:3] offset:40
	global_load_b64 v[4:5], v3, s[2:3]
	s_wait_loadcnt 0x1
	v_and_b32_e32 v0, v0, v12
	v_and_b32_e32 v1, v1, v13
	s_delay_alu instid0(VALU_DEP_1) | instskip(SKIP_1) | instid1(VALU_DEP_1)
	v_mul_u64_e32 v[0:1], 24, v[0:1]
	s_wait_loadcnt 0x0
	v_add_nc_u64_e32 v[0:1], v[4:5], v[0:1]
	global_load_b64 v[10:11], v[0:1], off scope:SCOPE_SYS
	s_wait_xcnt 0x0
	s_wait_loadcnt 0x0
	global_atomic_cmpswap_b64 v[0:1], v3, v[10:13], s[2:3] offset:24 th:TH_ATOMIC_RETURN scope:SCOPE_SYS
	s_wait_loadcnt 0x0
	global_inv scope:SCOPE_SYS
	s_wait_xcnt 0x0
	v_cmpx_ne_u64_e64 v[0:1], v[12:13]
	s_cbranch_execz .LBB4_227
; %bb.224:
	s_mov_b32 s5, 0
.LBB4_225:                              ; =>This Inner Loop Header: Depth=1
	s_sleep 1
	s_clause 0x1
	global_load_b64 v[4:5], v3, s[2:3] offset:40
	global_load_b64 v[10:11], v3, s[2:3]
	v_mov_b64_e32 v[12:13], v[0:1]
	s_wait_loadcnt 0x1
	s_delay_alu instid0(VALU_DEP_1) | instskip(NEXT) | instid1(VALU_DEP_2)
	v_and_b32_e32 v0, v4, v12
	v_and_b32_e32 v4, v5, v13
	s_wait_loadcnt 0x0
	s_delay_alu instid0(VALU_DEP_2) | instskip(NEXT) | instid1(VALU_DEP_1)
	v_mad_nc_u64_u32 v[0:1], v0, 24, v[10:11]
	v_mad_u32 v1, v4, 24, v1
	global_load_b64 v[10:11], v[0:1], off scope:SCOPE_SYS
	s_wait_xcnt 0x0
	s_wait_loadcnt 0x0
	global_atomic_cmpswap_b64 v[0:1], v3, v[10:13], s[2:3] offset:24 th:TH_ATOMIC_RETURN scope:SCOPE_SYS
	s_wait_loadcnt 0x0
	global_inv scope:SCOPE_SYS
	v_cmp_eq_u64_e32 vcc_lo, v[0:1], v[12:13]
	s_or_b32 s5, vcc_lo, s5
	s_wait_xcnt 0x0
	s_and_not1_b32 exec_lo, exec_lo, s5
	s_cbranch_execnz .LBB4_225
; %bb.226:
	s_or_b32 exec_lo, exec_lo, s5
.LBB4_227:
	s_delay_alu instid0(SALU_CYCLE_1)
	s_or_b32 exec_lo, exec_lo, s4
.LBB4_228:
	s_delay_alu instid0(SALU_CYCLE_1)
	s_or_b32 exec_lo, exec_lo, s1
	v_readfirstlane_b32 s4, v0
	v_mov_b32_e32 v35, 0
	v_readfirstlane_b32 s5, v1
	s_mov_b32 s1, exec_lo
	s_clause 0x1
	global_load_b64 v[4:5], v35, s[2:3] offset:40
	global_load_b128 v[12:15], v35, s[2:3]
	s_wait_loadcnt 0x1
	v_and_b32_e32 v4, s4, v4
	v_and_b32_e32 v5, s5, v5
	s_delay_alu instid0(VALU_DEP_1) | instskip(SKIP_1) | instid1(VALU_DEP_1)
	v_mul_u64_e32 v[0:1], 24, v[4:5]
	s_wait_loadcnt 0x0
	v_add_nc_u64_e32 v[0:1], v[12:13], v[0:1]
	s_wait_xcnt 0x0
	s_and_saveexec_b32 s6, s0
	s_cbranch_execz .LBB4_230
; %bb.229:
	v_mov_b64_e32 v[18:19], 0x100000002
	v_dual_mov_b32 v16, s1 :: v_dual_mov_b32 v17, v35
	global_store_b128 v[0:1], v[16:19], off offset:8
.LBB4_230:
	s_wait_xcnt 0x0
	s_or_b32 exec_lo, exec_lo, s6
	v_lshlrev_b64_e32 v[4:5], 12, v[4:5]
	s_mov_b32 s12, 0
	v_and_or_b32 v8, 0xffffff1f, v8, 32
	s_mov_b32 s14, s12
	s_mov_b32 s15, s12
	;; [unrolled: 1-line block ×3, first 2 shown]
	v_dual_mov_b32 v10, v35 :: v_dual_mov_b32 v11, v35
	v_add_nc_u64_e32 v[4:5], v[14:15], v[4:5]
	v_mov_b64_e32 v[16:17], s[14:15]
	v_mov_b64_e32 v[14:15], s[12:13]
	s_delay_alu instid0(VALU_DEP_3) | instskip(NEXT) | instid1(VALU_DEP_4)
	v_readfirstlane_b32 s6, v4
	v_readfirstlane_b32 s7, v5
	s_clause 0x3
	global_store_b128 v34, v[8:11], s[6:7]
	global_store_b128 v34, v[14:17], s[6:7] offset:16
	global_store_b128 v34, v[14:17], s[6:7] offset:32
	;; [unrolled: 1-line block ×3, first 2 shown]
	s_wait_xcnt 0x0
	s_and_saveexec_b32 s1, s0
	s_cbranch_execz .LBB4_238
; %bb.231:
	v_dual_mov_b32 v3, 0 :: v_dual_mov_b32 v15, s5
	s_mov_b32 s6, exec_lo
	s_clause 0x1
	global_load_b64 v[16:17], v3, s[2:3] offset:32 scope:SCOPE_SYS
	global_load_b64 v[8:9], v3, s[2:3] offset:40
	s_wait_loadcnt 0x0
	v_dual_mov_b32 v14, s4 :: v_dual_bitop2_b32 v9, s5, v9 bitop3:0x40
	v_and_b32_e32 v8, s4, v8
	s_delay_alu instid0(VALU_DEP_1) | instskip(NEXT) | instid1(VALU_DEP_1)
	v_mul_u64_e32 v[8:9], 24, v[8:9]
	v_add_nc_u64_e32 v[12:13], v[12:13], v[8:9]
	global_store_b64 v[12:13], v[16:17], off
	global_wb scope:SCOPE_SYS
	s_wait_storecnt 0x0
	s_wait_xcnt 0x0
	global_atomic_cmpswap_b64 v[10:11], v3, v[14:17], s[2:3] offset:32 th:TH_ATOMIC_RETURN scope:SCOPE_SYS
	s_wait_loadcnt 0x0
	v_cmpx_ne_u64_e64 v[10:11], v[16:17]
	s_cbranch_execz .LBB4_234
; %bb.232:
	s_mov_b32 s7, 0
.LBB4_233:                              ; =>This Inner Loop Header: Depth=1
	v_dual_mov_b32 v8, s4 :: v_dual_mov_b32 v9, s5
	s_sleep 1
	global_store_b64 v[12:13], v[10:11], off
	global_wb scope:SCOPE_SYS
	s_wait_storecnt 0x0
	s_wait_xcnt 0x0
	global_atomic_cmpswap_b64 v[8:9], v3, v[8:11], s[2:3] offset:32 th:TH_ATOMIC_RETURN scope:SCOPE_SYS
	s_wait_loadcnt 0x0
	v_cmp_eq_u64_e32 vcc_lo, v[8:9], v[10:11]
	v_mov_b64_e32 v[10:11], v[8:9]
	s_or_b32 s7, vcc_lo, s7
	s_delay_alu instid0(SALU_CYCLE_1)
	s_and_not1_b32 exec_lo, exec_lo, s7
	s_cbranch_execnz .LBB4_233
.LBB4_234:
	s_or_b32 exec_lo, exec_lo, s6
	v_mov_b32_e32 v11, 0
	s_mov_b32 s7, exec_lo
	s_mov_b32 s6, exec_lo
	v_mbcnt_lo_u32_b32 v3, s7, 0
	global_load_b64 v[8:9], v11, s[2:3] offset:16
	s_wait_xcnt 0x0
	v_cmpx_eq_u32_e32 0, v3
	s_cbranch_execz .LBB4_236
; %bb.235:
	s_bcnt1_i32_b32 s7, s7
	s_delay_alu instid0(SALU_CYCLE_1)
	v_mov_b32_e32 v10, s7
	global_wb scope:SCOPE_SYS
	s_wait_loadcnt 0x0
	s_wait_storecnt 0x0
	global_atomic_add_u64 v[8:9], v[10:11], off offset:8 scope:SCOPE_SYS
.LBB4_236:
	s_wait_xcnt 0x0
	s_or_b32 exec_lo, exec_lo, s6
	s_wait_loadcnt 0x0
	global_load_b64 v[10:11], v[8:9], off offset:16
	s_wait_loadcnt 0x0
	v_cmp_eq_u64_e32 vcc_lo, 0, v[10:11]
	s_cbranch_vccnz .LBB4_238
; %bb.237:
	global_load_b32 v8, v[8:9], off offset:24
	s_wait_xcnt 0x0
	v_mov_b32_e32 v9, 0
	s_wait_loadcnt 0x0
	v_readfirstlane_b32 s6, v8
	global_wb scope:SCOPE_SYS
	s_wait_storecnt 0x0
	global_store_b64 v[10:11], v[8:9], off scope:SCOPE_SYS
	s_and_b32 m0, s6, 0xffffff
	s_sendmsg sendmsg(MSG_INTERRUPT)
.LBB4_238:
	s_wait_xcnt 0x0
	s_or_b32 exec_lo, exec_lo, s1
	v_add_nc_u64_e32 v[4:5], v[4:5], v[34:35]
	s_branch .LBB4_242
.LBB4_239:                              ;   in Loop: Header=BB4_242 Depth=1
	s_wait_xcnt 0x0
	s_or_b32 exec_lo, exec_lo, s1
	s_delay_alu instid0(VALU_DEP_1)
	v_readfirstlane_b32 s1, v3
	s_cmp_eq_u32 s1, 0
	s_cbranch_scc1 .LBB4_241
; %bb.240:                              ;   in Loop: Header=BB4_242 Depth=1
	s_sleep 1
	s_cbranch_execnz .LBB4_242
	s_branch .LBB4_244
.LBB4_241:
	s_branch .LBB4_244
.LBB4_242:                              ; =>This Inner Loop Header: Depth=1
	v_mov_b32_e32 v3, 1
	s_and_saveexec_b32 s1, s0
	s_cbranch_execz .LBB4_239
; %bb.243:                              ;   in Loop: Header=BB4_242 Depth=1
	global_load_b32 v3, v[0:1], off offset:20 scope:SCOPE_SYS
	s_wait_loadcnt 0x0
	global_inv scope:SCOPE_SYS
	v_and_b32_e32 v3, 1, v3
	s_branch .LBB4_239
.LBB4_244:
	global_load_b64 v[10:11], v[4:5], off
	s_wait_xcnt 0x0
	s_and_saveexec_b32 s6, s0
	s_cbranch_execz .LBB4_248
; %bb.245:
	v_mov_b32_e32 v3, 0
	s_clause 0x2
	global_load_b64 v[0:1], v3, s[2:3] offset:40
	global_load_b64 v[16:17], v3, s[2:3] offset:24 scope:SCOPE_SYS
	global_load_b64 v[4:5], v3, s[2:3]
	s_wait_loadcnt 0x2
	v_readfirstlane_b32 s10, v0
	v_readfirstlane_b32 s11, v1
	s_add_nc_u64 s[0:1], s[10:11], 1
	s_delay_alu instid0(SALU_CYCLE_1) | instskip(NEXT) | instid1(SALU_CYCLE_1)
	s_add_nc_u64 s[4:5], s[0:1], s[4:5]
	s_cmp_eq_u64 s[4:5], 0
	s_cselect_b32 s1, s1, s5
	s_cselect_b32 s0, s0, s4
	v_mov_b32_e32 v15, s1
	s_and_b64 s[4:5], s[0:1], s[10:11]
	v_mov_b32_e32 v14, s0
	s_mul_u64 s[4:5], s[4:5], 24
	s_wait_loadcnt 0x0
	v_add_nc_u64_e32 v[0:1], s[4:5], v[4:5]
	global_store_b64 v[0:1], v[16:17], off
	global_wb scope:SCOPE_SYS
	s_wait_storecnt 0x0
	s_wait_xcnt 0x0
	global_atomic_cmpswap_b64 v[14:15], v3, v[14:17], s[2:3] offset:24 th:TH_ATOMIC_RETURN scope:SCOPE_SYS
	s_wait_loadcnt 0x0
	v_cmp_ne_u64_e32 vcc_lo, v[14:15], v[16:17]
	s_and_b32 exec_lo, exec_lo, vcc_lo
	s_cbranch_execz .LBB4_248
; %bb.246:
	s_mov_b32 s4, 0
.LBB4_247:                              ; =>This Inner Loop Header: Depth=1
	v_dual_mov_b32 v12, s0 :: v_dual_mov_b32 v13, s1
	s_sleep 1
	global_store_b64 v[0:1], v[14:15], off
	global_wb scope:SCOPE_SYS
	s_wait_storecnt 0x0
	s_wait_xcnt 0x0
	global_atomic_cmpswap_b64 v[4:5], v3, v[12:15], s[2:3] offset:24 th:TH_ATOMIC_RETURN scope:SCOPE_SYS
	s_wait_loadcnt 0x0
	v_cmp_eq_u64_e32 vcc_lo, v[4:5], v[14:15]
	v_mov_b64_e32 v[14:15], v[4:5]
	s_or_b32 s4, vcc_lo, s4
	s_delay_alu instid0(SALU_CYCLE_1)
	s_and_not1_b32 exec_lo, exec_lo, s4
	s_cbranch_execnz .LBB4_247
.LBB4_248:
	s_or_b32 exec_lo, exec_lo, s6
.LBB4_249:
	v_readfirstlane_b32 s0, v52
	v_mov_b64_e32 v[0:1], 0
	s_delay_alu instid0(VALU_DEP_2)
	v_cmp_eq_u32_e64 s0, s0, v52
	s_and_saveexec_b32 s1, s0
	s_cbranch_execz .LBB4_255
; %bb.250:
	v_mov_b32_e32 v3, 0
	s_mov_b32 s4, exec_lo
	global_load_b64 v[14:15], v3, s[2:3] offset:24 scope:SCOPE_SYS
	s_wait_loadcnt 0x0
	global_inv scope:SCOPE_SYS
	s_clause 0x1
	global_load_b64 v[0:1], v3, s[2:3] offset:40
	global_load_b64 v[4:5], v3, s[2:3]
	s_wait_loadcnt 0x1
	v_and_b32_e32 v0, v0, v14
	v_and_b32_e32 v1, v1, v15
	s_delay_alu instid0(VALU_DEP_1) | instskip(SKIP_1) | instid1(VALU_DEP_1)
	v_mul_u64_e32 v[0:1], 24, v[0:1]
	s_wait_loadcnt 0x0
	v_add_nc_u64_e32 v[0:1], v[4:5], v[0:1]
	global_load_b64 v[12:13], v[0:1], off scope:SCOPE_SYS
	s_wait_xcnt 0x0
	s_wait_loadcnt 0x0
	global_atomic_cmpswap_b64 v[0:1], v3, v[12:15], s[2:3] offset:24 th:TH_ATOMIC_RETURN scope:SCOPE_SYS
	s_wait_loadcnt 0x0
	global_inv scope:SCOPE_SYS
	s_wait_xcnt 0x0
	v_cmpx_ne_u64_e64 v[0:1], v[14:15]
	s_cbranch_execz .LBB4_254
; %bb.251:
	s_mov_b32 s5, 0
.LBB4_252:                              ; =>This Inner Loop Header: Depth=1
	s_sleep 1
	s_clause 0x1
	global_load_b64 v[4:5], v3, s[2:3] offset:40
	global_load_b64 v[8:9], v3, s[2:3]
	v_mov_b64_e32 v[14:15], v[0:1]
	s_wait_loadcnt 0x1
	s_delay_alu instid0(VALU_DEP_1) | instskip(NEXT) | instid1(VALU_DEP_2)
	v_and_b32_e32 v0, v4, v14
	v_and_b32_e32 v4, v5, v15
	s_wait_loadcnt 0x0
	s_delay_alu instid0(VALU_DEP_2) | instskip(NEXT) | instid1(VALU_DEP_1)
	v_mad_nc_u64_u32 v[0:1], v0, 24, v[8:9]
	v_mad_u32 v1, v4, 24, v1
	global_load_b64 v[12:13], v[0:1], off scope:SCOPE_SYS
	s_wait_xcnt 0x0
	s_wait_loadcnt 0x0
	global_atomic_cmpswap_b64 v[0:1], v3, v[12:15], s[2:3] offset:24 th:TH_ATOMIC_RETURN scope:SCOPE_SYS
	s_wait_loadcnt 0x0
	global_inv scope:SCOPE_SYS
	v_cmp_eq_u64_e32 vcc_lo, v[0:1], v[14:15]
	s_or_b32 s5, vcc_lo, s5
	s_wait_xcnt 0x0
	s_and_not1_b32 exec_lo, exec_lo, s5
	s_cbranch_execnz .LBB4_252
; %bb.253:
	s_or_b32 exec_lo, exec_lo, s5
.LBB4_254:
	s_delay_alu instid0(SALU_CYCLE_1)
	s_or_b32 exec_lo, exec_lo, s4
.LBB4_255:
	s_delay_alu instid0(SALU_CYCLE_1)
	s_or_b32 exec_lo, exec_lo, s1
	v_readfirstlane_b32 s4, v0
	v_mov_b32_e32 v35, 0
	v_readfirstlane_b32 s5, v1
	s_mov_b32 s1, exec_lo
	s_clause 0x1
	global_load_b64 v[4:5], v35, s[2:3] offset:40
	global_load_b128 v[14:17], v35, s[2:3]
	s_wait_loadcnt 0x1
	v_and_b32_e32 v0, s4, v4
	v_and_b32_e32 v1, s5, v5
	s_delay_alu instid0(VALU_DEP_1) | instskip(SKIP_1) | instid1(VALU_DEP_1)
	v_mul_u64_e32 v[4:5], 24, v[0:1]
	s_wait_loadcnt 0x0
	v_add_nc_u64_e32 v[4:5], v[14:15], v[4:5]
	s_wait_xcnt 0x0
	s_and_saveexec_b32 s6, s0
	s_cbranch_execz .LBB4_257
; %bb.256:
	v_mov_b64_e32 v[20:21], 0x100000002
	v_dual_mov_b32 v18, s1 :: v_dual_mov_b32 v19, v35
	global_store_b128 v[4:5], v[18:21], off offset:8
.LBB4_257:
	s_wait_xcnt 0x0
	s_or_b32 exec_lo, exec_lo, s6
	v_lshlrev_b64_e32 v[0:1], 12, v[0:1]
	s_mov_b32 s12, 0
	v_dual_mov_b32 v12, v2 :: v_dual_mov_b32 v13, v35
	s_mov_b32 s13, s12
	s_mov_b32 s14, s12
	;; [unrolled: 1-line block ×3, first 2 shown]
	s_delay_alu instid0(VALU_DEP_2) | instskip(SKIP_3) | instid1(VALU_DEP_4)
	v_add_nc_u64_e32 v[8:9], v[16:17], v[0:1]
	v_mov_b64_e32 v[0:1], s[12:13]
	v_mov_b64_e32 v[2:3], s[14:15]
	v_and_or_b32 v10, 0xffffff1f, v10, 32
	v_readfirstlane_b32 s6, v8
	v_readfirstlane_b32 s7, v9
	s_clause 0x3
	global_store_b128 v34, v[10:13], s[6:7]
	global_store_b128 v34, v[0:3], s[6:7] offset:16
	global_store_b128 v34, v[0:3], s[6:7] offset:32
	;; [unrolled: 1-line block ×3, first 2 shown]
	s_wait_xcnt 0x0
	s_and_saveexec_b32 s1, s0
	s_cbranch_execz .LBB4_265
; %bb.258:
	v_mov_b32_e32 v12, 0
	s_mov_b32 s6, exec_lo
	s_clause 0x1
	global_load_b64 v[16:17], v12, s[2:3] offset:32 scope:SCOPE_SYS
	global_load_b64 v[0:1], v12, s[2:3] offset:40
	s_wait_loadcnt 0x0
	v_and_b32_e32 v0, s4, v0
	v_and_b32_e32 v1, s5, v1
	s_delay_alu instid0(VALU_DEP_1) | instskip(NEXT) | instid1(VALU_DEP_1)
	v_mul_u64_e32 v[0:1], 24, v[0:1]
	v_add_nc_u64_e32 v[10:11], v[14:15], v[0:1]
	v_dual_mov_b32 v14, s4 :: v_dual_mov_b32 v15, s5
	global_store_b64 v[10:11], v[16:17], off
	global_wb scope:SCOPE_SYS
	s_wait_storecnt 0x0
	s_wait_xcnt 0x0
	global_atomic_cmpswap_b64 v[2:3], v12, v[14:17], s[2:3] offset:32 th:TH_ATOMIC_RETURN scope:SCOPE_SYS
	s_wait_loadcnt 0x0
	v_cmpx_ne_u64_e64 v[2:3], v[16:17]
	s_cbranch_execz .LBB4_261
; %bb.259:
	s_mov_b32 s7, 0
.LBB4_260:                              ; =>This Inner Loop Header: Depth=1
	v_dual_mov_b32 v0, s4 :: v_dual_mov_b32 v1, s5
	s_sleep 1
	global_store_b64 v[10:11], v[2:3], off
	global_wb scope:SCOPE_SYS
	s_wait_storecnt 0x0
	s_wait_xcnt 0x0
	global_atomic_cmpswap_b64 v[0:1], v12, v[0:3], s[2:3] offset:32 th:TH_ATOMIC_RETURN scope:SCOPE_SYS
	s_wait_loadcnt 0x0
	v_cmp_eq_u64_e32 vcc_lo, v[0:1], v[2:3]
	v_mov_b64_e32 v[2:3], v[0:1]
	s_or_b32 s7, vcc_lo, s7
	s_delay_alu instid0(SALU_CYCLE_1)
	s_and_not1_b32 exec_lo, exec_lo, s7
	s_cbranch_execnz .LBB4_260
.LBB4_261:
	s_or_b32 exec_lo, exec_lo, s6
	v_mov_b32_e32 v3, 0
	s_mov_b32 s7, exec_lo
	s_mov_b32 s6, exec_lo
	v_mbcnt_lo_u32_b32 v2, s7, 0
	global_load_b64 v[0:1], v3, s[2:3] offset:16
	s_wait_xcnt 0x0
	v_cmpx_eq_u32_e32 0, v2
	s_cbranch_execz .LBB4_263
; %bb.262:
	s_bcnt1_i32_b32 s7, s7
	s_delay_alu instid0(SALU_CYCLE_1)
	v_mov_b32_e32 v2, s7
	global_wb scope:SCOPE_SYS
	s_wait_loadcnt 0x0
	s_wait_storecnt 0x0
	global_atomic_add_u64 v[0:1], v[2:3], off offset:8 scope:SCOPE_SYS
.LBB4_263:
	s_wait_xcnt 0x0
	s_or_b32 exec_lo, exec_lo, s6
	s_wait_loadcnt 0x0
	global_load_b64 v[2:3], v[0:1], off offset:16
	s_wait_loadcnt 0x0
	v_cmp_eq_u64_e32 vcc_lo, 0, v[2:3]
	s_cbranch_vccnz .LBB4_265
; %bb.264:
	global_load_b32 v0, v[0:1], off offset:24
	s_wait_xcnt 0x0
	v_mov_b32_e32 v1, 0
	s_wait_loadcnt 0x0
	v_readfirstlane_b32 s6, v0
	global_wb scope:SCOPE_SYS
	s_wait_storecnt 0x0
	global_store_b64 v[2:3], v[0:1], off scope:SCOPE_SYS
	s_and_b32 m0, s6, 0xffffff
	s_sendmsg sendmsg(MSG_INTERRUPT)
.LBB4_265:
	s_wait_xcnt 0x0
	s_or_b32 exec_lo, exec_lo, s1
	v_add_nc_u64_e32 v[0:1], v[8:9], v[34:35]
	s_branch .LBB4_269
.LBB4_266:                              ;   in Loop: Header=BB4_269 Depth=1
	s_wait_xcnt 0x0
	s_or_b32 exec_lo, exec_lo, s1
	s_delay_alu instid0(VALU_DEP_1)
	v_readfirstlane_b32 s1, v2
	s_cmp_eq_u32 s1, 0
	s_cbranch_scc1 .LBB4_268
; %bb.267:                              ;   in Loop: Header=BB4_269 Depth=1
	s_sleep 1
	s_cbranch_execnz .LBB4_269
	s_branch .LBB4_271
.LBB4_268:
	s_branch .LBB4_271
.LBB4_269:                              ; =>This Inner Loop Header: Depth=1
	v_mov_b32_e32 v2, 1
	s_and_saveexec_b32 s1, s0
	s_cbranch_execz .LBB4_266
; %bb.270:                              ;   in Loop: Header=BB4_269 Depth=1
	global_load_b32 v2, v[4:5], off offset:20 scope:SCOPE_SYS
	s_wait_loadcnt 0x0
	global_inv scope:SCOPE_SYS
	v_and_b32_e32 v2, 1, v2
	s_branch .LBB4_266
.LBB4_271:
	global_load_b64 v[0:1], v[0:1], off
	s_wait_xcnt 0x0
	s_and_saveexec_b32 s6, s0
	s_cbranch_execz .LBB4_275
; %bb.272:
	v_mov_b32_e32 v10, 0
	s_clause 0x2
	global_load_b64 v[2:3], v10, s[2:3] offset:40
	global_load_b64 v[14:15], v10, s[2:3] offset:24 scope:SCOPE_SYS
	global_load_b64 v[4:5], v10, s[2:3]
	s_wait_loadcnt 0x2
	v_readfirstlane_b32 s10, v2
	v_readfirstlane_b32 s11, v3
	s_add_nc_u64 s[0:1], s[10:11], 1
	s_delay_alu instid0(SALU_CYCLE_1) | instskip(NEXT) | instid1(SALU_CYCLE_1)
	s_add_nc_u64 s[4:5], s[0:1], s[4:5]
	s_cmp_eq_u64 s[4:5], 0
	s_cselect_b32 s1, s1, s5
	s_cselect_b32 s0, s0, s4
	v_mov_b32_e32 v13, s1
	s_and_b64 s[4:5], s[0:1], s[10:11]
	v_mov_b32_e32 v12, s0
	s_mul_u64 s[4:5], s[4:5], 24
	s_wait_loadcnt 0x0
	v_add_nc_u64_e32 v[8:9], s[4:5], v[4:5]
	global_store_b64 v[8:9], v[14:15], off
	global_wb scope:SCOPE_SYS
	s_wait_storecnt 0x0
	s_wait_xcnt 0x0
	global_atomic_cmpswap_b64 v[4:5], v10, v[12:15], s[2:3] offset:24 th:TH_ATOMIC_RETURN scope:SCOPE_SYS
	s_wait_loadcnt 0x0
	v_cmp_ne_u64_e32 vcc_lo, v[4:5], v[14:15]
	s_and_b32 exec_lo, exec_lo, vcc_lo
	s_cbranch_execz .LBB4_275
; %bb.273:
	s_mov_b32 s4, 0
.LBB4_274:                              ; =>This Inner Loop Header: Depth=1
	v_dual_mov_b32 v2, s0 :: v_dual_mov_b32 v3, s1
	s_sleep 1
	global_store_b64 v[8:9], v[4:5], off
	global_wb scope:SCOPE_SYS
	s_wait_storecnt 0x0
	s_wait_xcnt 0x0
	global_atomic_cmpswap_b64 v[2:3], v10, v[2:5], s[2:3] offset:24 th:TH_ATOMIC_RETURN scope:SCOPE_SYS
	s_wait_loadcnt 0x0
	v_cmp_eq_u64_e32 vcc_lo, v[2:3], v[4:5]
	v_mov_b64_e32 v[4:5], v[2:3]
	s_or_b32 s4, vcc_lo, s4
	s_delay_alu instid0(SALU_CYCLE_1)
	s_and_not1_b32 exec_lo, exec_lo, s4
	s_cbranch_execnz .LBB4_274
.LBB4_275:
	s_or_b32 exec_lo, exec_lo, s6
	v_mov_b64_e32 v[2:3], v[36:37]
	s_mov_b32 s0, 0
.LBB4_276:                              ; =>This Inner Loop Header: Depth=1
	global_load_u8 v4, v[2:3], off
	s_wait_xcnt 0x0
	v_add_nc_u64_e32 v[2:3], 1, v[2:3]
	s_wait_loadcnt 0x0
	v_cmp_eq_u16_e32 vcc_lo, 0, v4
	s_or_b32 s0, vcc_lo, s0
	s_delay_alu instid0(SALU_CYCLE_1)
	s_and_not1_b32 exec_lo, exec_lo, s0
	s_cbranch_execnz .LBB4_276
; %bb.277:
	s_or_b32 exec_lo, exec_lo, s0
	s_delay_alu instid0(SALU_CYCLE_1)
	s_mov_b32 s0, exec_lo
	v_cmpx_ne_u64_e32 0, v[36:37]
	s_xor_b32 s6, exec_lo, s0
	s_cbranch_execz .LBB4_363
; %bb.278:
	v_dual_mov_b32 v35, 0 :: v_dual_sub_nc_u32 v28, v2, v36
	v_mov_b64_e32 v[10:11], 0x100000002
	v_and_b32_e32 v30, 2, v0
	v_and_b32_e32 v0, -3, v0
	s_delay_alu instid0(VALU_DEP_4)
	v_ashrrev_i32_e32 v29, 31, v28
	s_mov_b32 s10, 0
	s_mov_b32 s7, 0
	s_branch .LBB4_280
.LBB4_279:                              ;   in Loop: Header=BB4_280 Depth=1
	s_or_b32 exec_lo, exec_lo, s11
	v_sub_nc_u64_e32 v[28:29], v[28:29], v[32:33]
	v_add_nc_u64_e32 v[36:37], v[36:37], v[32:33]
	s_delay_alu instid0(VALU_DEP_2) | instskip(SKIP_1) | instid1(SALU_CYCLE_1)
	v_cmp_eq_u64_e32 vcc_lo, 0, v[28:29]
	s_or_b32 s7, vcc_lo, s7
	s_and_not1_b32 exec_lo, exec_lo, s7
	s_cbranch_execz .LBB4_362
.LBB4_280:                              ; =>This Loop Header: Depth=1
                                        ;     Child Loop BB4_283 Depth 2
                                        ;     Child Loop BB4_291 Depth 2
	;; [unrolled: 1-line block ×11, first 2 shown]
	s_delay_alu instid0(VALU_DEP_1) | instskip(NEXT) | instid1(VALU_DEP_3)
	v_min_u64 v[32:33], v[28:29], 56
	v_add_nc_u64_e32 v[8:9], 8, v[36:37]
	s_mov_b32 s0, exec_lo
	v_cmpx_gt_u64_e32 8, v[28:29]
	s_xor_b32 s4, exec_lo, s0
	s_cbranch_execz .LBB4_286
; %bb.281:                              ;   in Loop: Header=BB4_280 Depth=1
	v_mov_b64_e32 v[2:3], 0
	s_mov_b32 s5, exec_lo
	v_cmpx_ne_u64_e32 0, v[28:29]
	s_cbranch_execz .LBB4_285
; %bb.282:                              ;   in Loop: Header=BB4_280 Depth=1
	v_mov_b64_e32 v[2:3], 0
	v_mov_b64_e32 v[8:9], v[36:37]
	v_lshlrev_b32_e32 v4, 3, v32
	s_mov_b64 s[0:1], 0
	s_mov_b32 s11, 0
.LBB4_283:                              ;   Parent Loop BB4_280 Depth=1
                                        ; =>  This Inner Loop Header: Depth=2
	global_load_u8 v5, v[8:9], off
	v_mov_b32_e32 v13, s10
	s_wait_xcnt 0x0
	v_add_nc_u64_e32 v[8:9], 1, v[8:9]
	s_wait_loadcnt 0x0
	v_and_b32_e32 v12, 0xffff, v5
	s_delay_alu instid0(VALU_DEP_1) | instskip(SKIP_1) | instid1(SALU_CYCLE_1)
	v_lshlrev_b64_e32 v[12:13], s0, v[12:13]
	s_add_nc_u64 s[0:1], s[0:1], 8
	v_cmp_eq_u32_e32 vcc_lo, s0, v4
	s_delay_alu instid0(VALU_DEP_2) | instskip(NEXT) | instid1(VALU_DEP_3)
	v_or_b32_e32 v3, v13, v3
	v_or_b32_e32 v2, v12, v2
	s_or_b32 s11, vcc_lo, s11
	s_delay_alu instid0(SALU_CYCLE_1)
	s_and_not1_b32 exec_lo, exec_lo, s11
	s_cbranch_execnz .LBB4_283
; %bb.284:                              ;   in Loop: Header=BB4_280 Depth=1
	s_or_b32 exec_lo, exec_lo, s11
.LBB4_285:                              ;   in Loop: Header=BB4_280 Depth=1
	s_delay_alu instid0(SALU_CYCLE_1)
	s_or_b32 exec_lo, exec_lo, s5
	v_mov_b64_e32 v[8:9], v[36:37]
.LBB4_286:                              ;   in Loop: Header=BB4_280 Depth=1
	s_or_saveexec_b32 s0, s4
	v_mov_b32_e32 v14, 0
	s_xor_b32 exec_lo, exec_lo, s0
	s_cbranch_execz .LBB4_288
; %bb.287:                              ;   in Loop: Header=BB4_280 Depth=1
	global_load_b64 v[2:3], v[36:37], off
	v_add_nc_u32_e32 v14, -8, v32
.LBB4_288:                              ;   in Loop: Header=BB4_280 Depth=1
	s_wait_xcnt 0x0
	s_or_b32 exec_lo, exec_lo, s0
	v_add_nc_u64_e32 v[4:5], 8, v[8:9]
                                        ; implicit-def: $vgpr12_vgpr13
	s_mov_b32 s0, exec_lo
	v_cmpx_gt_u32_e32 8, v14
	s_xor_b32 s11, exec_lo, s0
	s_cbranch_execz .LBB4_294
; %bb.289:                              ;   in Loop: Header=BB4_280 Depth=1
	v_mov_b64_e32 v[12:13], 0
	s_mov_b32 s12, exec_lo
	v_cmpx_ne_u32_e32 0, v14
	s_cbranch_execz .LBB4_293
; %bb.290:                              ;   in Loop: Header=BB4_280 Depth=1
	v_mov_b64_e32 v[12:13], 0
	s_mov_b64 s[0:1], 0
	s_mov_b32 s13, 0
	s_mov_b64 s[4:5], 0
.LBB4_291:                              ;   Parent Loop BB4_280 Depth=1
                                        ; =>  This Inner Loop Header: Depth=2
	s_delay_alu instid0(SALU_CYCLE_1) | instskip(SKIP_1) | instid1(SALU_CYCLE_1)
	v_add_nc_u64_e32 v[4:5], s[4:5], v[8:9]
	s_add_nc_u64 s[4:5], s[4:5], 1
	v_cmp_eq_u32_e32 vcc_lo, s4, v14
	global_load_u8 v4, v[4:5], off
	s_wait_xcnt 0x0
	v_mov_b32_e32 v5, s10
	s_or_b32 s13, vcc_lo, s13
	s_wait_loadcnt 0x0
	v_and_b32_e32 v4, 0xffff, v4
	s_delay_alu instid0(VALU_DEP_1) | instskip(SKIP_1) | instid1(VALU_DEP_1)
	v_lshlrev_b64_e32 v[4:5], s0, v[4:5]
	s_add_nc_u64 s[0:1], s[0:1], 8
	v_or_b32_e32 v13, v5, v13
	s_delay_alu instid0(VALU_DEP_2)
	v_or_b32_e32 v12, v4, v12
	s_and_not1_b32 exec_lo, exec_lo, s13
	s_cbranch_execnz .LBB4_291
; %bb.292:                              ;   in Loop: Header=BB4_280 Depth=1
	s_or_b32 exec_lo, exec_lo, s13
.LBB4_293:                              ;   in Loop: Header=BB4_280 Depth=1
	s_delay_alu instid0(SALU_CYCLE_1)
	s_or_b32 exec_lo, exec_lo, s12
	v_mov_b64_e32 v[4:5], v[8:9]
                                        ; implicit-def: $vgpr14
.LBB4_294:                              ;   in Loop: Header=BB4_280 Depth=1
	s_or_saveexec_b32 s0, s11
	v_mov_b32_e32 v16, 0
	s_xor_b32 exec_lo, exec_lo, s0
	s_cbranch_execz .LBB4_296
; %bb.295:                              ;   in Loop: Header=BB4_280 Depth=1
	global_load_b64 v[12:13], v[8:9], off
	v_add_nc_u32_e32 v16, -8, v14
.LBB4_296:                              ;   in Loop: Header=BB4_280 Depth=1
	s_wait_xcnt 0x0
	s_or_b32 exec_lo, exec_lo, s0
	v_add_nc_u64_e32 v[8:9], 8, v[4:5]
	s_mov_b32 s0, exec_lo
	v_cmpx_gt_u32_e32 8, v16
	s_xor_b32 s11, exec_lo, s0
	s_cbranch_execz .LBB4_302
; %bb.297:                              ;   in Loop: Header=BB4_280 Depth=1
	v_mov_b64_e32 v[14:15], 0
	s_mov_b32 s12, exec_lo
	v_cmpx_ne_u32_e32 0, v16
	s_cbranch_execz .LBB4_301
; %bb.298:                              ;   in Loop: Header=BB4_280 Depth=1
	v_mov_b64_e32 v[14:15], 0
	s_mov_b64 s[0:1], 0
	s_mov_b32 s13, 0
	s_mov_b64 s[4:5], 0
.LBB4_299:                              ;   Parent Loop BB4_280 Depth=1
                                        ; =>  This Inner Loop Header: Depth=2
	s_delay_alu instid0(SALU_CYCLE_1) | instskip(SKIP_1) | instid1(SALU_CYCLE_1)
	v_add_nc_u64_e32 v[8:9], s[4:5], v[4:5]
	s_add_nc_u64 s[4:5], s[4:5], 1
	v_cmp_eq_u32_e32 vcc_lo, s4, v16
	global_load_u8 v8, v[8:9], off
	s_wait_xcnt 0x0
	v_mov_b32_e32 v9, s10
	s_or_b32 s13, vcc_lo, s13
	s_wait_loadcnt 0x0
	v_and_b32_e32 v8, 0xffff, v8
	s_delay_alu instid0(VALU_DEP_1) | instskip(SKIP_1) | instid1(VALU_DEP_1)
	v_lshlrev_b64_e32 v[8:9], s0, v[8:9]
	s_add_nc_u64 s[0:1], s[0:1], 8
	v_or_b32_e32 v15, v9, v15
	s_delay_alu instid0(VALU_DEP_2)
	v_or_b32_e32 v14, v8, v14
	s_and_not1_b32 exec_lo, exec_lo, s13
	s_cbranch_execnz .LBB4_299
; %bb.300:                              ;   in Loop: Header=BB4_280 Depth=1
	s_or_b32 exec_lo, exec_lo, s13
.LBB4_301:                              ;   in Loop: Header=BB4_280 Depth=1
	s_delay_alu instid0(SALU_CYCLE_1)
	s_or_b32 exec_lo, exec_lo, s12
	v_mov_b64_e32 v[8:9], v[4:5]
                                        ; implicit-def: $vgpr16
.LBB4_302:                              ;   in Loop: Header=BB4_280 Depth=1
	s_or_saveexec_b32 s0, s11
	v_mov_b32_e32 v18, 0
	s_xor_b32 exec_lo, exec_lo, s0
	s_cbranch_execz .LBB4_304
; %bb.303:                              ;   in Loop: Header=BB4_280 Depth=1
	global_load_b64 v[14:15], v[4:5], off
	v_add_nc_u32_e32 v18, -8, v16
.LBB4_304:                              ;   in Loop: Header=BB4_280 Depth=1
	s_wait_xcnt 0x0
	s_or_b32 exec_lo, exec_lo, s0
	v_add_nc_u64_e32 v[4:5], 8, v[8:9]
                                        ; implicit-def: $vgpr16_vgpr17
	s_mov_b32 s0, exec_lo
	v_cmpx_gt_u32_e32 8, v18
	s_xor_b32 s11, exec_lo, s0
	s_cbranch_execz .LBB4_310
; %bb.305:                              ;   in Loop: Header=BB4_280 Depth=1
	v_mov_b64_e32 v[16:17], 0
	s_mov_b32 s12, exec_lo
	v_cmpx_ne_u32_e32 0, v18
	s_cbranch_execz .LBB4_309
; %bb.306:                              ;   in Loop: Header=BB4_280 Depth=1
	v_mov_b64_e32 v[16:17], 0
	s_mov_b64 s[0:1], 0
	s_mov_b32 s13, 0
	s_mov_b64 s[4:5], 0
.LBB4_307:                              ;   Parent Loop BB4_280 Depth=1
                                        ; =>  This Inner Loop Header: Depth=2
	s_delay_alu instid0(SALU_CYCLE_1) | instskip(SKIP_1) | instid1(SALU_CYCLE_1)
	v_add_nc_u64_e32 v[4:5], s[4:5], v[8:9]
	s_add_nc_u64 s[4:5], s[4:5], 1
	v_cmp_eq_u32_e32 vcc_lo, s4, v18
	global_load_u8 v4, v[4:5], off
	s_wait_xcnt 0x0
	v_mov_b32_e32 v5, s10
	s_or_b32 s13, vcc_lo, s13
	s_wait_loadcnt 0x0
	v_and_b32_e32 v4, 0xffff, v4
	s_delay_alu instid0(VALU_DEP_1) | instskip(SKIP_1) | instid1(VALU_DEP_1)
	v_lshlrev_b64_e32 v[4:5], s0, v[4:5]
	s_add_nc_u64 s[0:1], s[0:1], 8
	v_or_b32_e32 v17, v5, v17
	s_delay_alu instid0(VALU_DEP_2)
	v_or_b32_e32 v16, v4, v16
	s_and_not1_b32 exec_lo, exec_lo, s13
	s_cbranch_execnz .LBB4_307
; %bb.308:                              ;   in Loop: Header=BB4_280 Depth=1
	s_or_b32 exec_lo, exec_lo, s13
.LBB4_309:                              ;   in Loop: Header=BB4_280 Depth=1
	s_delay_alu instid0(SALU_CYCLE_1)
	s_or_b32 exec_lo, exec_lo, s12
	v_mov_b64_e32 v[4:5], v[8:9]
                                        ; implicit-def: $vgpr18
.LBB4_310:                              ;   in Loop: Header=BB4_280 Depth=1
	s_or_saveexec_b32 s0, s11
	v_mov_b32_e32 v20, 0
	s_xor_b32 exec_lo, exec_lo, s0
	s_cbranch_execz .LBB4_312
; %bb.311:                              ;   in Loop: Header=BB4_280 Depth=1
	global_load_b64 v[16:17], v[8:9], off
	v_add_nc_u32_e32 v20, -8, v18
.LBB4_312:                              ;   in Loop: Header=BB4_280 Depth=1
	s_wait_xcnt 0x0
	s_or_b32 exec_lo, exec_lo, s0
	v_add_nc_u64_e32 v[8:9], 8, v[4:5]
	s_mov_b32 s0, exec_lo
	v_cmpx_gt_u32_e32 8, v20
	s_xor_b32 s11, exec_lo, s0
	s_cbranch_execz .LBB4_318
; %bb.313:                              ;   in Loop: Header=BB4_280 Depth=1
	v_mov_b64_e32 v[18:19], 0
	s_mov_b32 s12, exec_lo
	v_cmpx_ne_u32_e32 0, v20
	s_cbranch_execz .LBB4_317
; %bb.314:                              ;   in Loop: Header=BB4_280 Depth=1
	v_mov_b64_e32 v[18:19], 0
	s_mov_b64 s[0:1], 0
	s_mov_b32 s13, 0
	s_mov_b64 s[4:5], 0
.LBB4_315:                              ;   Parent Loop BB4_280 Depth=1
                                        ; =>  This Inner Loop Header: Depth=2
	s_delay_alu instid0(SALU_CYCLE_1) | instskip(SKIP_1) | instid1(SALU_CYCLE_1)
	v_add_nc_u64_e32 v[8:9], s[4:5], v[4:5]
	s_add_nc_u64 s[4:5], s[4:5], 1
	v_cmp_eq_u32_e32 vcc_lo, s4, v20
	global_load_u8 v8, v[8:9], off
	s_wait_xcnt 0x0
	v_mov_b32_e32 v9, s10
	s_or_b32 s13, vcc_lo, s13
	s_wait_loadcnt 0x0
	v_and_b32_e32 v8, 0xffff, v8
	s_delay_alu instid0(VALU_DEP_1) | instskip(SKIP_1) | instid1(VALU_DEP_1)
	v_lshlrev_b64_e32 v[8:9], s0, v[8:9]
	s_add_nc_u64 s[0:1], s[0:1], 8
	v_or_b32_e32 v19, v9, v19
	s_delay_alu instid0(VALU_DEP_2)
	v_or_b32_e32 v18, v8, v18
	s_and_not1_b32 exec_lo, exec_lo, s13
	s_cbranch_execnz .LBB4_315
; %bb.316:                              ;   in Loop: Header=BB4_280 Depth=1
	s_or_b32 exec_lo, exec_lo, s13
.LBB4_317:                              ;   in Loop: Header=BB4_280 Depth=1
	s_delay_alu instid0(SALU_CYCLE_1)
	s_or_b32 exec_lo, exec_lo, s12
	v_mov_b64_e32 v[8:9], v[4:5]
                                        ; implicit-def: $vgpr20
.LBB4_318:                              ;   in Loop: Header=BB4_280 Depth=1
	s_or_saveexec_b32 s0, s11
	v_mov_b32_e32 v22, 0
	s_xor_b32 exec_lo, exec_lo, s0
	s_cbranch_execz .LBB4_320
; %bb.319:                              ;   in Loop: Header=BB4_280 Depth=1
	global_load_b64 v[18:19], v[4:5], off
	v_add_nc_u32_e32 v22, -8, v20
.LBB4_320:                              ;   in Loop: Header=BB4_280 Depth=1
	s_wait_xcnt 0x0
	s_or_b32 exec_lo, exec_lo, s0
	v_add_nc_u64_e32 v[4:5], 8, v[8:9]
                                        ; implicit-def: $vgpr20_vgpr21
	s_mov_b32 s0, exec_lo
	v_cmpx_gt_u32_e32 8, v22
	s_xor_b32 s11, exec_lo, s0
	s_cbranch_execz .LBB4_326
; %bb.321:                              ;   in Loop: Header=BB4_280 Depth=1
	v_mov_b64_e32 v[20:21], 0
	s_mov_b32 s12, exec_lo
	v_cmpx_ne_u32_e32 0, v22
	s_cbranch_execz .LBB4_325
; %bb.322:                              ;   in Loop: Header=BB4_280 Depth=1
	v_mov_b64_e32 v[20:21], 0
	s_mov_b64 s[0:1], 0
	s_mov_b32 s13, 0
	s_mov_b64 s[4:5], 0
.LBB4_323:                              ;   Parent Loop BB4_280 Depth=1
                                        ; =>  This Inner Loop Header: Depth=2
	s_delay_alu instid0(SALU_CYCLE_1) | instskip(SKIP_1) | instid1(SALU_CYCLE_1)
	v_add_nc_u64_e32 v[4:5], s[4:5], v[8:9]
	s_add_nc_u64 s[4:5], s[4:5], 1
	v_cmp_eq_u32_e32 vcc_lo, s4, v22
	global_load_u8 v4, v[4:5], off
	s_wait_xcnt 0x0
	v_mov_b32_e32 v5, s10
	s_or_b32 s13, vcc_lo, s13
	s_wait_loadcnt 0x0
	v_and_b32_e32 v4, 0xffff, v4
	s_delay_alu instid0(VALU_DEP_1) | instskip(SKIP_1) | instid1(VALU_DEP_1)
	v_lshlrev_b64_e32 v[4:5], s0, v[4:5]
	s_add_nc_u64 s[0:1], s[0:1], 8
	v_or_b32_e32 v21, v5, v21
	s_delay_alu instid0(VALU_DEP_2)
	v_or_b32_e32 v20, v4, v20
	s_and_not1_b32 exec_lo, exec_lo, s13
	s_cbranch_execnz .LBB4_323
; %bb.324:                              ;   in Loop: Header=BB4_280 Depth=1
	s_or_b32 exec_lo, exec_lo, s13
.LBB4_325:                              ;   in Loop: Header=BB4_280 Depth=1
	s_delay_alu instid0(SALU_CYCLE_1)
	s_or_b32 exec_lo, exec_lo, s12
	v_mov_b64_e32 v[4:5], v[8:9]
                                        ; implicit-def: $vgpr22
.LBB4_326:                              ;   in Loop: Header=BB4_280 Depth=1
	s_or_saveexec_b32 s0, s11
	v_mov_b32_e32 v24, 0
	s_xor_b32 exec_lo, exec_lo, s0
	s_cbranch_execz .LBB4_328
; %bb.327:                              ;   in Loop: Header=BB4_280 Depth=1
	global_load_b64 v[20:21], v[8:9], off
	v_add_nc_u32_e32 v24, -8, v22
.LBB4_328:                              ;   in Loop: Header=BB4_280 Depth=1
	s_wait_xcnt 0x0
	s_or_b32 exec_lo, exec_lo, s0
	s_delay_alu instid0(SALU_CYCLE_1) | instskip(NEXT) | instid1(VALU_DEP_1)
	s_mov_b32 s0, exec_lo
	v_cmpx_gt_u32_e32 8, v24
	s_xor_b32 s4, exec_lo, s0
	s_cbranch_execz .LBB4_334
; %bb.329:                              ;   in Loop: Header=BB4_280 Depth=1
	v_mov_b64_e32 v[22:23], 0
	s_mov_b32 s5, exec_lo
	v_cmpx_ne_u32_e32 0, v24
	s_cbranch_execz .LBB4_333
; %bb.330:                              ;   in Loop: Header=BB4_280 Depth=1
	v_mov_b64_e32 v[22:23], 0
	s_mov_b64 s[0:1], 0
	s_mov_b32 s11, 0
.LBB4_331:                              ;   Parent Loop BB4_280 Depth=1
                                        ; =>  This Inner Loop Header: Depth=2
	global_load_u8 v8, v[4:5], off
	v_dual_mov_b32 v9, s10 :: v_dual_add_nc_u32 v24, -1, v24
	s_wait_xcnt 0x0
	v_add_nc_u64_e32 v[4:5], 1, v[4:5]
	s_delay_alu instid0(VALU_DEP_2) | instskip(SKIP_3) | instid1(VALU_DEP_1)
	v_cmp_eq_u32_e32 vcc_lo, 0, v24
	s_or_b32 s11, vcc_lo, s11
	s_wait_loadcnt 0x0
	v_and_b32_e32 v8, 0xffff, v8
	v_lshlrev_b64_e32 v[8:9], s0, v[8:9]
	s_add_nc_u64 s[0:1], s[0:1], 8
	s_delay_alu instid0(VALU_DEP_1) | instskip(NEXT) | instid1(VALU_DEP_2)
	v_or_b32_e32 v23, v9, v23
	v_or_b32_e32 v22, v8, v22
	s_and_not1_b32 exec_lo, exec_lo, s11
	s_cbranch_execnz .LBB4_331
; %bb.332:                              ;   in Loop: Header=BB4_280 Depth=1
	s_or_b32 exec_lo, exec_lo, s11
.LBB4_333:                              ;   in Loop: Header=BB4_280 Depth=1
	s_delay_alu instid0(SALU_CYCLE_1)
	s_or_b32 exec_lo, exec_lo, s5
                                        ; implicit-def: $vgpr4_vgpr5
.LBB4_334:                              ;   in Loop: Header=BB4_280 Depth=1
	s_and_not1_saveexec_b32 s0, s4
	s_cbranch_execz .LBB4_336
; %bb.335:                              ;   in Loop: Header=BB4_280 Depth=1
	global_load_b64 v[22:23], v[4:5], off
.LBB4_336:                              ;   in Loop: Header=BB4_280 Depth=1
	s_wait_xcnt 0x0
	s_or_b32 exec_lo, exec_lo, s0
	v_readfirstlane_b32 s0, v52
	v_mov_b64_e32 v[4:5], 0
	s_delay_alu instid0(VALU_DEP_2)
	v_cmp_eq_u32_e64 s0, s0, v52
	s_and_saveexec_b32 s1, s0
	s_cbranch_execz .LBB4_342
; %bb.337:                              ;   in Loop: Header=BB4_280 Depth=1
	global_load_b64 v[26:27], v35, s[2:3] offset:24 scope:SCOPE_SYS
	s_wait_loadcnt 0x0
	global_inv scope:SCOPE_SYS
	s_clause 0x1
	global_load_b64 v[4:5], v35, s[2:3] offset:40
	global_load_b64 v[8:9], v35, s[2:3]
	s_mov_b32 s4, exec_lo
	s_wait_loadcnt 0x1
	v_and_b32_e32 v4, v4, v26
	v_and_b32_e32 v5, v5, v27
	s_delay_alu instid0(VALU_DEP_1) | instskip(SKIP_1) | instid1(VALU_DEP_1)
	v_mul_u64_e32 v[4:5], 24, v[4:5]
	s_wait_loadcnt 0x0
	v_add_nc_u64_e32 v[4:5], v[8:9], v[4:5]
	global_load_b64 v[24:25], v[4:5], off scope:SCOPE_SYS
	s_wait_xcnt 0x0
	s_wait_loadcnt 0x0
	global_atomic_cmpswap_b64 v[4:5], v35, v[24:27], s[2:3] offset:24 th:TH_ATOMIC_RETURN scope:SCOPE_SYS
	s_wait_loadcnt 0x0
	global_inv scope:SCOPE_SYS
	s_wait_xcnt 0x0
	v_cmpx_ne_u64_e64 v[4:5], v[26:27]
	s_cbranch_execz .LBB4_341
; %bb.338:                              ;   in Loop: Header=BB4_280 Depth=1
	s_mov_b32 s5, 0
.LBB4_339:                              ;   Parent Loop BB4_280 Depth=1
                                        ; =>  This Inner Loop Header: Depth=2
	s_sleep 1
	s_clause 0x1
	global_load_b64 v[8:9], v35, s[2:3] offset:40
	global_load_b64 v[24:25], v35, s[2:3]
	v_mov_b64_e32 v[26:27], v[4:5]
	s_wait_loadcnt 0x1
	s_delay_alu instid0(VALU_DEP_1) | instskip(NEXT) | instid1(VALU_DEP_2)
	v_and_b32_e32 v4, v8, v26
	v_and_b32_e32 v8, v9, v27
	s_wait_loadcnt 0x0
	s_delay_alu instid0(VALU_DEP_2) | instskip(NEXT) | instid1(VALU_DEP_1)
	v_mad_nc_u64_u32 v[4:5], v4, 24, v[24:25]
	v_mad_u32 v5, v8, 24, v5
	global_load_b64 v[24:25], v[4:5], off scope:SCOPE_SYS
	s_wait_xcnt 0x0
	s_wait_loadcnt 0x0
	global_atomic_cmpswap_b64 v[4:5], v35, v[24:27], s[2:3] offset:24 th:TH_ATOMIC_RETURN scope:SCOPE_SYS
	s_wait_loadcnt 0x0
	global_inv scope:SCOPE_SYS
	v_cmp_eq_u64_e32 vcc_lo, v[4:5], v[26:27]
	s_or_b32 s5, vcc_lo, s5
	s_wait_xcnt 0x0
	s_and_not1_b32 exec_lo, exec_lo, s5
	s_cbranch_execnz .LBB4_339
; %bb.340:                              ;   in Loop: Header=BB4_280 Depth=1
	s_or_b32 exec_lo, exec_lo, s5
.LBB4_341:                              ;   in Loop: Header=BB4_280 Depth=1
	s_delay_alu instid0(SALU_CYCLE_1)
	s_or_b32 exec_lo, exec_lo, s4
.LBB4_342:                              ;   in Loop: Header=BB4_280 Depth=1
	s_delay_alu instid0(SALU_CYCLE_1)
	s_or_b32 exec_lo, exec_lo, s1
	s_clause 0x1
	global_load_b64 v[8:9], v35, s[2:3] offset:40
	global_load_b128 v[24:27], v35, s[2:3]
	v_readfirstlane_b32 s4, v4
	v_readfirstlane_b32 s5, v5
	s_mov_b32 s1, exec_lo
	s_wait_loadcnt 0x1
	v_and_b32_e32 v38, s4, v8
	v_and_b32_e32 v39, s5, v9
	s_delay_alu instid0(VALU_DEP_1) | instskip(SKIP_1) | instid1(VALU_DEP_1)
	v_mul_u64_e32 v[4:5], 24, v[38:39]
	s_wait_loadcnt 0x0
	v_add_nc_u64_e32 v[4:5], v[24:25], v[4:5]
	s_wait_xcnt 0x0
	s_and_saveexec_b32 s11, s0
	s_cbranch_execz .LBB4_344
; %bb.343:                              ;   in Loop: Header=BB4_280 Depth=1
	v_dual_mov_b32 v8, s1 :: v_dual_mov_b32 v9, v35
	global_store_b128 v[4:5], v[8:11], off offset:8
.LBB4_344:                              ;   in Loop: Header=BB4_280 Depth=1
	s_wait_xcnt 0x0
	s_or_b32 exec_lo, exec_lo, s11
	v_cmp_gt_u64_e32 vcc_lo, 57, v[28:29]
	v_lshlrev_b64_e32 v[8:9], 12, v[38:39]
	v_and_b32_e32 v0, 0xffffff1f, v0
	v_lshl_add_u32 v38, v32, 2, 28
	v_cndmask_b32_e32 v31, 0, v30, vcc_lo
	s_delay_alu instid0(VALU_DEP_4) | instskip(NEXT) | instid1(VALU_DEP_2)
	v_add_nc_u64_e32 v[8:9], v[26:27], v[8:9]
	v_or_b32_e32 v0, v0, v31
	s_delay_alu instid0(VALU_DEP_2) | instskip(NEXT) | instid1(VALU_DEP_3)
	v_readfirstlane_b32 s12, v8
	v_readfirstlane_b32 s13, v9
	s_delay_alu instid0(VALU_DEP_3)
	v_and_or_b32 v0, 0x1e0, v38, v0
	s_clause 0x3
	global_store_b128 v34, v[0:3], s[12:13]
	global_store_b128 v34, v[12:15], s[12:13] offset:16
	global_store_b128 v34, v[16:19], s[12:13] offset:32
	;; [unrolled: 1-line block ×3, first 2 shown]
	s_wait_xcnt 0x0
	s_and_saveexec_b32 s1, s0
	s_cbranch_execz .LBB4_352
; %bb.345:                              ;   in Loop: Header=BB4_280 Depth=1
	s_clause 0x1
	global_load_b64 v[16:17], v35, s[2:3] offset:32 scope:SCOPE_SYS
	global_load_b64 v[0:1], v35, s[2:3] offset:40
	s_mov_b32 s11, exec_lo
	v_dual_mov_b32 v14, s4 :: v_dual_mov_b32 v15, s5
	s_wait_loadcnt 0x0
	v_and_b32_e32 v1, s5, v1
	v_and_b32_e32 v0, s4, v0
	s_delay_alu instid0(VALU_DEP_1) | instskip(NEXT) | instid1(VALU_DEP_1)
	v_mul_u64_e32 v[0:1], 24, v[0:1]
	v_add_nc_u64_e32 v[12:13], v[24:25], v[0:1]
	global_store_b64 v[12:13], v[16:17], off
	global_wb scope:SCOPE_SYS
	s_wait_storecnt 0x0
	s_wait_xcnt 0x0
	global_atomic_cmpswap_b64 v[2:3], v35, v[14:17], s[2:3] offset:32 th:TH_ATOMIC_RETURN scope:SCOPE_SYS
	s_wait_loadcnt 0x0
	v_cmpx_ne_u64_e64 v[2:3], v[16:17]
	s_cbranch_execz .LBB4_348
; %bb.346:                              ;   in Loop: Header=BB4_280 Depth=1
	s_mov_b32 s12, 0
.LBB4_347:                              ;   Parent Loop BB4_280 Depth=1
                                        ; =>  This Inner Loop Header: Depth=2
	v_dual_mov_b32 v0, s4 :: v_dual_mov_b32 v1, s5
	s_sleep 1
	global_store_b64 v[12:13], v[2:3], off
	global_wb scope:SCOPE_SYS
	s_wait_storecnt 0x0
	s_wait_xcnt 0x0
	global_atomic_cmpswap_b64 v[0:1], v35, v[0:3], s[2:3] offset:32 th:TH_ATOMIC_RETURN scope:SCOPE_SYS
	s_wait_loadcnt 0x0
	v_cmp_eq_u64_e32 vcc_lo, v[0:1], v[2:3]
	v_mov_b64_e32 v[2:3], v[0:1]
	s_or_b32 s12, vcc_lo, s12
	s_delay_alu instid0(SALU_CYCLE_1)
	s_and_not1_b32 exec_lo, exec_lo, s12
	s_cbranch_execnz .LBB4_347
.LBB4_348:                              ;   in Loop: Header=BB4_280 Depth=1
	s_or_b32 exec_lo, exec_lo, s11
	global_load_b64 v[0:1], v35, s[2:3] offset:16
	s_mov_b32 s12, exec_lo
	s_mov_b32 s11, exec_lo
	v_mbcnt_lo_u32_b32 v2, s12, 0
	s_wait_xcnt 0x0
	s_delay_alu instid0(VALU_DEP_1)
	v_cmpx_eq_u32_e32 0, v2
	s_cbranch_execz .LBB4_350
; %bb.349:                              ;   in Loop: Header=BB4_280 Depth=1
	s_bcnt1_i32_b32 s12, s12
	s_delay_alu instid0(SALU_CYCLE_1)
	v_dual_mov_b32 v3, v35 :: v_dual_mov_b32 v2, s12
	global_wb scope:SCOPE_SYS
	s_wait_loadcnt 0x0
	s_wait_storecnt 0x0
	global_atomic_add_u64 v[0:1], v[2:3], off offset:8 scope:SCOPE_SYS
.LBB4_350:                              ;   in Loop: Header=BB4_280 Depth=1
	s_wait_xcnt 0x0
	s_or_b32 exec_lo, exec_lo, s11
	s_wait_loadcnt 0x0
	global_load_b64 v[2:3], v[0:1], off offset:16
	s_wait_loadcnt 0x0
	v_cmp_eq_u64_e32 vcc_lo, 0, v[2:3]
	s_cbranch_vccnz .LBB4_352
; %bb.351:                              ;   in Loop: Header=BB4_280 Depth=1
	global_load_b32 v0, v[0:1], off offset:24
	s_wait_xcnt 0x0
	v_mov_b32_e32 v1, v35
	s_wait_loadcnt 0x0
	v_readfirstlane_b32 s11, v0
	global_wb scope:SCOPE_SYS
	s_wait_storecnt 0x0
	global_store_b64 v[2:3], v[0:1], off scope:SCOPE_SYS
	s_and_b32 m0, s11, 0xffffff
	s_sendmsg sendmsg(MSG_INTERRUPT)
.LBB4_352:                              ;   in Loop: Header=BB4_280 Depth=1
	s_wait_xcnt 0x0
	s_or_b32 exec_lo, exec_lo, s1
	v_add_nc_u64_e32 v[0:1], v[8:9], v[34:35]
	s_branch .LBB4_356
.LBB4_353:                              ;   in Loop: Header=BB4_356 Depth=2
	s_wait_xcnt 0x0
	s_or_b32 exec_lo, exec_lo, s1
	s_delay_alu instid0(VALU_DEP_1)
	v_readfirstlane_b32 s1, v2
	s_cmp_eq_u32 s1, 0
	s_cbranch_scc1 .LBB4_355
; %bb.354:                              ;   in Loop: Header=BB4_356 Depth=2
	s_sleep 1
	s_cbranch_execnz .LBB4_356
	s_branch .LBB4_358
.LBB4_355:                              ;   in Loop: Header=BB4_280 Depth=1
	s_branch .LBB4_358
.LBB4_356:                              ;   Parent Loop BB4_280 Depth=1
                                        ; =>  This Inner Loop Header: Depth=2
	v_mov_b32_e32 v2, 1
	s_and_saveexec_b32 s1, s0
	s_cbranch_execz .LBB4_353
; %bb.357:                              ;   in Loop: Header=BB4_356 Depth=2
	global_load_b32 v2, v[4:5], off offset:20 scope:SCOPE_SYS
	s_wait_loadcnt 0x0
	global_inv scope:SCOPE_SYS
	v_and_b32_e32 v2, 1, v2
	s_branch .LBB4_353
.LBB4_358:                              ;   in Loop: Header=BB4_280 Depth=1
	global_load_b64 v[0:1], v[0:1], off
	s_wait_xcnt 0x0
	s_and_saveexec_b32 s11, s0
	s_cbranch_execz .LBB4_279
; %bb.359:                              ;   in Loop: Header=BB4_280 Depth=1
	s_clause 0x2
	global_load_b64 v[2:3], v35, s[2:3] offset:40
	global_load_b64 v[14:15], v35, s[2:3] offset:24 scope:SCOPE_SYS
	global_load_b64 v[4:5], v35, s[2:3]
	s_wait_loadcnt 0x2
	v_readfirstlane_b32 s12, v2
	v_readfirstlane_b32 s13, v3
	s_add_nc_u64 s[0:1], s[12:13], 1
	s_delay_alu instid0(SALU_CYCLE_1) | instskip(NEXT) | instid1(SALU_CYCLE_1)
	s_add_nc_u64 s[4:5], s[0:1], s[4:5]
	s_cmp_eq_u64 s[4:5], 0
	s_cselect_b32 s1, s1, s5
	s_cselect_b32 s0, s0, s4
	s_delay_alu instid0(SALU_CYCLE_1) | instskip(SKIP_1) | instid1(SALU_CYCLE_1)
	v_dual_mov_b32 v13, s1 :: v_dual_mov_b32 v12, s0
	s_and_b64 s[4:5], s[0:1], s[12:13]
	s_mul_u64 s[4:5], s[4:5], 24
	s_wait_loadcnt 0x0
	v_add_nc_u64_e32 v[8:9], s[4:5], v[4:5]
	global_store_b64 v[8:9], v[14:15], off
	global_wb scope:SCOPE_SYS
	s_wait_storecnt 0x0
	s_wait_xcnt 0x0
	global_atomic_cmpswap_b64 v[4:5], v35, v[12:15], s[2:3] offset:24 th:TH_ATOMIC_RETURN scope:SCOPE_SYS
	s_wait_loadcnt 0x0
	v_cmp_ne_u64_e32 vcc_lo, v[4:5], v[14:15]
	s_and_b32 exec_lo, exec_lo, vcc_lo
	s_cbranch_execz .LBB4_279
; %bb.360:                              ;   in Loop: Header=BB4_280 Depth=1
	s_mov_b32 s4, 0
.LBB4_361:                              ;   Parent Loop BB4_280 Depth=1
                                        ; =>  This Inner Loop Header: Depth=2
	v_dual_mov_b32 v2, s0 :: v_dual_mov_b32 v3, s1
	s_sleep 1
	global_store_b64 v[8:9], v[4:5], off
	global_wb scope:SCOPE_SYS
	s_wait_storecnt 0x0
	s_wait_xcnt 0x0
	global_atomic_cmpswap_b64 v[2:3], v35, v[2:5], s[2:3] offset:24 th:TH_ATOMIC_RETURN scope:SCOPE_SYS
	s_wait_loadcnt 0x0
	v_cmp_eq_u64_e32 vcc_lo, v[2:3], v[4:5]
	v_mov_b64_e32 v[4:5], v[2:3]
	s_or_b32 s4, vcc_lo, s4
	s_delay_alu instid0(SALU_CYCLE_1)
	s_and_not1_b32 exec_lo, exec_lo, s4
	s_cbranch_execnz .LBB4_361
	s_branch .LBB4_279
.LBB4_362:
	s_or_b32 exec_lo, exec_lo, s7
                                        ; implicit-def: $vgpr34
                                        ; implicit-def: $vgpr52
.LBB4_363:
	s_and_not1_saveexec_b32 s6, s6
	s_cbranch_execz .LBB4_391
; %bb.364:
	v_readfirstlane_b32 s0, v52
	v_mov_b64_e32 v[2:3], 0
	s_delay_alu instid0(VALU_DEP_2)
	v_cmp_eq_u32_e64 s0, s0, v52
	s_and_saveexec_b32 s1, s0
	s_cbranch_execz .LBB4_370
; %bb.365:
	v_mov_b32_e32 v4, 0
	s_mov_b32 s4, exec_lo
	global_load_b64 v[10:11], v4, s[2:3] offset:24 scope:SCOPE_SYS
	s_wait_loadcnt 0x0
	global_inv scope:SCOPE_SYS
	s_clause 0x1
	global_load_b64 v[2:3], v4, s[2:3] offset:40
	global_load_b64 v[8:9], v4, s[2:3]
	s_wait_loadcnt 0x1
	v_and_b32_e32 v2, v2, v10
	v_and_b32_e32 v3, v3, v11
	s_delay_alu instid0(VALU_DEP_1) | instskip(SKIP_1) | instid1(VALU_DEP_1)
	v_mul_u64_e32 v[2:3], 24, v[2:3]
	s_wait_loadcnt 0x0
	v_add_nc_u64_e32 v[2:3], v[8:9], v[2:3]
	global_load_b64 v[8:9], v[2:3], off scope:SCOPE_SYS
	s_wait_xcnt 0x0
	s_wait_loadcnt 0x0
	global_atomic_cmpswap_b64 v[2:3], v4, v[8:11], s[2:3] offset:24 th:TH_ATOMIC_RETURN scope:SCOPE_SYS
	s_wait_loadcnt 0x0
	global_inv scope:SCOPE_SYS
	s_wait_xcnt 0x0
	v_cmpx_ne_u64_e64 v[2:3], v[10:11]
	s_cbranch_execz .LBB4_369
; %bb.366:
	s_mov_b32 s5, 0
.LBB4_367:                              ; =>This Inner Loop Header: Depth=1
	s_sleep 1
	s_clause 0x1
	global_load_b64 v[8:9], v4, s[2:3] offset:40
	global_load_b64 v[12:13], v4, s[2:3]
	v_mov_b64_e32 v[10:11], v[2:3]
	s_wait_loadcnt 0x1
	s_delay_alu instid0(VALU_DEP_1) | instskip(NEXT) | instid1(VALU_DEP_2)
	v_and_b32_e32 v2, v8, v10
	v_and_b32_e32 v5, v9, v11
	s_wait_loadcnt 0x0
	s_delay_alu instid0(VALU_DEP_2) | instskip(NEXT) | instid1(VALU_DEP_1)
	v_mad_nc_u64_u32 v[2:3], v2, 24, v[12:13]
	v_mad_u32 v3, v5, 24, v3
	global_load_b64 v[8:9], v[2:3], off scope:SCOPE_SYS
	s_wait_xcnt 0x0
	s_wait_loadcnt 0x0
	global_atomic_cmpswap_b64 v[2:3], v4, v[8:11], s[2:3] offset:24 th:TH_ATOMIC_RETURN scope:SCOPE_SYS
	s_wait_loadcnt 0x0
	global_inv scope:SCOPE_SYS
	v_cmp_eq_u64_e32 vcc_lo, v[2:3], v[10:11]
	s_or_b32 s5, vcc_lo, s5
	s_wait_xcnt 0x0
	s_and_not1_b32 exec_lo, exec_lo, s5
	s_cbranch_execnz .LBB4_367
; %bb.368:
	s_or_b32 exec_lo, exec_lo, s5
.LBB4_369:
	s_delay_alu instid0(SALU_CYCLE_1)
	s_or_b32 exec_lo, exec_lo, s4
.LBB4_370:
	s_delay_alu instid0(SALU_CYCLE_1)
	s_or_b32 exec_lo, exec_lo, s1
	v_readfirstlane_b32 s4, v2
	v_mov_b32_e32 v35, 0
	v_readfirstlane_b32 s5, v3
	s_mov_b32 s1, exec_lo
	s_clause 0x1
	global_load_b64 v[4:5], v35, s[2:3] offset:40
	global_load_b128 v[8:11], v35, s[2:3]
	s_wait_loadcnt 0x1
	v_and_b32_e32 v2, s4, v4
	v_and_b32_e32 v3, s5, v5
	s_delay_alu instid0(VALU_DEP_1) | instskip(SKIP_1) | instid1(VALU_DEP_1)
	v_mul_u64_e32 v[4:5], 24, v[2:3]
	s_wait_loadcnt 0x0
	v_add_nc_u64_e32 v[4:5], v[8:9], v[4:5]
	s_wait_xcnt 0x0
	s_and_saveexec_b32 s7, s0
	s_cbranch_execz .LBB4_372
; %bb.371:
	v_mov_b64_e32 v[14:15], 0x100000002
	v_dual_mov_b32 v12, s1 :: v_dual_mov_b32 v13, v35
	global_store_b128 v[4:5], v[12:15], off offset:8
.LBB4_372:
	s_wait_xcnt 0x0
	s_or_b32 exec_lo, exec_lo, s7
	v_lshlrev_b64_e32 v[2:3], 12, v[2:3]
	s_mov_b32 s12, 0
	v_and_or_b32 v0, 0xffffff1f, v0, 32
	s_mov_b32 s13, s12
	s_mov_b32 s14, s12
	;; [unrolled: 1-line block ×3, first 2 shown]
	v_mov_b64_e32 v[12:13], s[12:13]
	v_add_nc_u64_e32 v[10:11], v[10:11], v[2:3]
	v_mov_b64_e32 v[14:15], s[14:15]
	v_dual_mov_b32 v2, v35 :: v_dual_mov_b32 v3, v35
	s_delay_alu instid0(VALU_DEP_3) | instskip(NEXT) | instid1(VALU_DEP_4)
	v_readfirstlane_b32 s10, v10
	v_readfirstlane_b32 s11, v11
	s_clause 0x3
	global_store_b128 v34, v[0:3], s[10:11]
	global_store_b128 v34, v[12:15], s[10:11] offset:16
	global_store_b128 v34, v[12:15], s[10:11] offset:32
	;; [unrolled: 1-line block ×3, first 2 shown]
	s_wait_xcnt 0x0
	s_and_saveexec_b32 s1, s0
	s_cbranch_execz .LBB4_380
; %bb.373:
	v_dual_mov_b32 v12, 0 :: v_dual_mov_b32 v15, s5
	s_mov_b32 s7, exec_lo
	s_clause 0x1
	global_load_b64 v[16:17], v12, s[2:3] offset:32 scope:SCOPE_SYS
	global_load_b64 v[0:1], v12, s[2:3] offset:40
	s_wait_loadcnt 0x0
	v_dual_mov_b32 v14, s4 :: v_dual_bitop2_b32 v1, s5, v1 bitop3:0x40
	v_and_b32_e32 v0, s4, v0
	s_delay_alu instid0(VALU_DEP_1) | instskip(NEXT) | instid1(VALU_DEP_1)
	v_mul_u64_e32 v[0:1], 24, v[0:1]
	v_add_nc_u64_e32 v[8:9], v[8:9], v[0:1]
	global_store_b64 v[8:9], v[16:17], off
	global_wb scope:SCOPE_SYS
	s_wait_storecnt 0x0
	s_wait_xcnt 0x0
	global_atomic_cmpswap_b64 v[2:3], v12, v[14:17], s[2:3] offset:32 th:TH_ATOMIC_RETURN scope:SCOPE_SYS
	s_wait_loadcnt 0x0
	v_cmpx_ne_u64_e64 v[2:3], v[16:17]
	s_cbranch_execz .LBB4_376
; %bb.374:
	s_mov_b32 s10, 0
.LBB4_375:                              ; =>This Inner Loop Header: Depth=1
	v_dual_mov_b32 v0, s4 :: v_dual_mov_b32 v1, s5
	s_sleep 1
	global_store_b64 v[8:9], v[2:3], off
	global_wb scope:SCOPE_SYS
	s_wait_storecnt 0x0
	s_wait_xcnt 0x0
	global_atomic_cmpswap_b64 v[0:1], v12, v[0:3], s[2:3] offset:32 th:TH_ATOMIC_RETURN scope:SCOPE_SYS
	s_wait_loadcnt 0x0
	v_cmp_eq_u64_e32 vcc_lo, v[0:1], v[2:3]
	v_mov_b64_e32 v[2:3], v[0:1]
	s_or_b32 s10, vcc_lo, s10
	s_delay_alu instid0(SALU_CYCLE_1)
	s_and_not1_b32 exec_lo, exec_lo, s10
	s_cbranch_execnz .LBB4_375
.LBB4_376:
	s_or_b32 exec_lo, exec_lo, s7
	v_mov_b32_e32 v3, 0
	s_mov_b32 s10, exec_lo
	s_mov_b32 s7, exec_lo
	v_mbcnt_lo_u32_b32 v2, s10, 0
	global_load_b64 v[0:1], v3, s[2:3] offset:16
	s_wait_xcnt 0x0
	v_cmpx_eq_u32_e32 0, v2
	s_cbranch_execz .LBB4_378
; %bb.377:
	s_bcnt1_i32_b32 s10, s10
	s_delay_alu instid0(SALU_CYCLE_1)
	v_mov_b32_e32 v2, s10
	global_wb scope:SCOPE_SYS
	s_wait_loadcnt 0x0
	s_wait_storecnt 0x0
	global_atomic_add_u64 v[0:1], v[2:3], off offset:8 scope:SCOPE_SYS
.LBB4_378:
	s_wait_xcnt 0x0
	s_or_b32 exec_lo, exec_lo, s7
	s_wait_loadcnt 0x0
	global_load_b64 v[2:3], v[0:1], off offset:16
	s_wait_loadcnt 0x0
	v_cmp_eq_u64_e32 vcc_lo, 0, v[2:3]
	s_cbranch_vccnz .LBB4_380
; %bb.379:
	global_load_b32 v0, v[0:1], off offset:24
	s_wait_xcnt 0x0
	v_mov_b32_e32 v1, 0
	s_wait_loadcnt 0x0
	v_readfirstlane_b32 s7, v0
	global_wb scope:SCOPE_SYS
	s_wait_storecnt 0x0
	global_store_b64 v[2:3], v[0:1], off scope:SCOPE_SYS
	s_and_b32 m0, s7, 0xffffff
	s_sendmsg sendmsg(MSG_INTERRUPT)
.LBB4_380:
	s_wait_xcnt 0x0
	s_or_b32 exec_lo, exec_lo, s1
	v_add_nc_u64_e32 v[0:1], v[10:11], v[34:35]
	s_branch .LBB4_384
.LBB4_381:                              ;   in Loop: Header=BB4_384 Depth=1
	s_wait_xcnt 0x0
	s_or_b32 exec_lo, exec_lo, s1
	s_delay_alu instid0(VALU_DEP_1)
	v_readfirstlane_b32 s1, v2
	s_cmp_eq_u32 s1, 0
	s_cbranch_scc1 .LBB4_383
; %bb.382:                              ;   in Loop: Header=BB4_384 Depth=1
	s_sleep 1
	s_cbranch_execnz .LBB4_384
	s_branch .LBB4_386
.LBB4_383:
	s_branch .LBB4_386
.LBB4_384:                              ; =>This Inner Loop Header: Depth=1
	v_mov_b32_e32 v2, 1
	s_and_saveexec_b32 s1, s0
	s_cbranch_execz .LBB4_381
; %bb.385:                              ;   in Loop: Header=BB4_384 Depth=1
	global_load_b32 v2, v[4:5], off offset:20 scope:SCOPE_SYS
	s_wait_loadcnt 0x0
	global_inv scope:SCOPE_SYS
	v_and_b32_e32 v2, 1, v2
	s_branch .LBB4_381
.LBB4_386:
	global_load_b64 v[0:1], v[0:1], off
	s_wait_xcnt 0x0
	s_and_saveexec_b32 s7, s0
	s_cbranch_execz .LBB4_390
; %bb.387:
	v_mov_b32_e32 v10, 0
	s_clause 0x2
	global_load_b64 v[2:3], v10, s[2:3] offset:40
	global_load_b64 v[14:15], v10, s[2:3] offset:24 scope:SCOPE_SYS
	global_load_b64 v[4:5], v10, s[2:3]
	s_wait_loadcnt 0x2
	v_readfirstlane_b32 s10, v2
	v_readfirstlane_b32 s11, v3
	s_add_nc_u64 s[0:1], s[10:11], 1
	s_delay_alu instid0(SALU_CYCLE_1) | instskip(NEXT) | instid1(SALU_CYCLE_1)
	s_add_nc_u64 s[4:5], s[0:1], s[4:5]
	s_cmp_eq_u64 s[4:5], 0
	s_cselect_b32 s1, s1, s5
	s_cselect_b32 s0, s0, s4
	v_mov_b32_e32 v13, s1
	s_and_b64 s[4:5], s[0:1], s[10:11]
	v_mov_b32_e32 v12, s0
	s_mul_u64 s[4:5], s[4:5], 24
	s_wait_loadcnt 0x0
	v_add_nc_u64_e32 v[8:9], s[4:5], v[4:5]
	global_store_b64 v[8:9], v[14:15], off
	global_wb scope:SCOPE_SYS
	s_wait_storecnt 0x0
	s_wait_xcnt 0x0
	global_atomic_cmpswap_b64 v[4:5], v10, v[12:15], s[2:3] offset:24 th:TH_ATOMIC_RETURN scope:SCOPE_SYS
	s_wait_loadcnt 0x0
	v_cmp_ne_u64_e32 vcc_lo, v[4:5], v[14:15]
	s_and_b32 exec_lo, exec_lo, vcc_lo
	s_cbranch_execz .LBB4_390
; %bb.388:
	s_mov_b32 s4, 0
.LBB4_389:                              ; =>This Inner Loop Header: Depth=1
	v_dual_mov_b32 v2, s0 :: v_dual_mov_b32 v3, s1
	s_sleep 1
	global_store_b64 v[8:9], v[4:5], off
	global_wb scope:SCOPE_SYS
	s_wait_storecnt 0x0
	s_wait_xcnt 0x0
	global_atomic_cmpswap_b64 v[2:3], v10, v[2:5], s[2:3] offset:24 th:TH_ATOMIC_RETURN scope:SCOPE_SYS
	s_wait_loadcnt 0x0
	v_cmp_eq_u64_e32 vcc_lo, v[2:3], v[4:5]
	v_mov_b64_e32 v[4:5], v[2:3]
	s_or_b32 s4, vcc_lo, s4
	s_delay_alu instid0(SALU_CYCLE_1)
	s_and_not1_b32 exec_lo, exec_lo, s4
	s_cbranch_execnz .LBB4_389
.LBB4_390:
	s_or_b32 exec_lo, exec_lo, s7
.LBB4_391:
	s_delay_alu instid0(SALU_CYCLE_1)
	s_or_b32 exec_lo, exec_lo, s6
	v_mov_b64_e32 v[2:3], v[6:7]
	s_mov_b32 s0, 0
.LBB4_392:                              ; =>This Inner Loop Header: Depth=1
	global_load_u8 v4, v[2:3], off
	s_wait_xcnt 0x0
	v_add_nc_u64_e32 v[2:3], 1, v[2:3]
	s_wait_loadcnt 0x0
	v_cmp_eq_u16_e32 vcc_lo, 0, v4
	s_or_b32 s0, vcc_lo, s0
	s_delay_alu instid0(SALU_CYCLE_1)
	s_and_not1_b32 exec_lo, exec_lo, s0
	s_cbranch_execnz .LBB4_392
; %bb.393:
	s_or_b32 exec_lo, exec_lo, s0
	v_dual_mov_b32 v3, v7 :: v_dual_sub_nc_u32 v4, v2, v6
	s_get_pc_i64 s[0:1]
	s_add_nc_u64 s[0:1], s[0:1], __ockl_fprintf_append_string_n@rel64+4
	v_dual_mov_b32 v2, v6 :: v_dual_mov_b32 v6, 1
	s_delay_alu instid0(VALU_DEP_2)
	v_ashrrev_i32_e32 v5, 31, v4
	s_swap_pc_i64 s[30:31], s[0:1]
	s_trap 2
.Lfunc_end4:
	.size	__assert_fail, .Lfunc_end4-__assert_fail
                                        ; -- End function
	.set .L__assert_fail.num_vgpr, max(53, .L__ockl_fprintf_append_string_n.num_vgpr)
	.set .L__assert_fail.num_agpr, max(0, .L__ockl_fprintf_append_string_n.num_agpr)
	.set .L__assert_fail.numbered_sgpr, max(34, .L__ockl_fprintf_append_string_n.numbered_sgpr)
	.set .L__assert_fail.num_named_barrier, max(0, .L__ockl_fprintf_append_string_n.num_named_barrier)
	.set .L__assert_fail.private_seg_size, 64+max(.L__ockl_fprintf_append_string_n.private_seg_size)
	.set .L__assert_fail.uses_vcc, or(1, .L__ockl_fprintf_append_string_n.uses_vcc)
	.set .L__assert_fail.uses_flat_scratch, or(1, .L__ockl_fprintf_append_string_n.uses_flat_scratch)
	.set .L__assert_fail.has_dyn_sized_stack, or(0, .L__ockl_fprintf_append_string_n.has_dyn_sized_stack)
	.set .L__assert_fail.has_recursion, or(0, .L__ockl_fprintf_append_string_n.has_recursion)
	.set .L__assert_fail.has_indirect_call, or(0, .L__ockl_fprintf_append_string_n.has_indirect_call)
	.section	.AMDGPU.csdata,"",@progbits
; Function info:
; codeLenInByte = 15748
; TotalNumSgprs: 36
; NumVgprs: 53
; ScratchSize: 64
; MemoryBound: 0
	.text
	.p2align	2                               ; -- Begin function _Z4EvaliPiiPN2rw7LibraryEi
	.type	_Z4EvaliPiiPN2rw7LibraryEi,@function
_Z4EvaliPiiPN2rw7LibraryEi:             ; @_Z4EvaliPiiPN2rw7LibraryEi
; %bb.0:
	s_wait_loadcnt_dscnt 0x0
	s_wait_kmcnt 0x0
	s_mov_b32 s0, s33
	s_mov_b32 s33, s32
	s_or_saveexec_b32 s1, -1
	scratch_store_b32 off, v45, s33 offset:44 ; 4-byte Folded Spill
	s_wait_xcnt 0x0
	s_mov_b32 exec_lo, s1
	v_writelane_b32 v45, s0, 6
	s_add_co_i32 s32, s32, 64
	s_clause 0xa
	scratch_store_b32 off, v40, s33 offset:40
	; meta instruction
	scratch_store_b32 off, v41, s33 offset:36
	; meta instruction
	;; [unrolled: 2-line block ×10, first 2 shown]
	scratch_store_b32 off, v59, s33
	v_writelane_b32 v45, s34, 0
	v_writelane_b32 v45, s35, 1
	;; [unrolled: 1-line block ×6, first 2 shown]
	s_wait_xcnt 0x4
	v_dual_mov_b32 v42, v6 :: v_dual_mov_b32 v47, v2
	v_dual_mov_b32 v46, v1 :: v_dual_mov_b32 v41, v5
	v_dual_mov_b32 v44, 0 :: v_dual_ashrrev_i32 v1, 31, v0
	v_dual_mov_b32 v40, v4 :: v_dual_mov_b32 v43, v3
	s_delay_alu instid0(VALU_DEP_2)
	v_lshl_add_u64 v[4:5], v[0:1], 2, v[46:47]
	flat_load_b32 v1, v[4:5]
	s_wait_loadcnt_dscnt 0x0
	v_cmp_gt_i32_e32 vcc_lo, 0, v1
	v_cmp_ne_u32_e64 s0, v1, v42
	s_and_b32 s0, vcc_lo, s0
	s_wait_xcnt 0x0
	s_and_saveexec_b32 s36, s0
	s_cbranch_execz .LBB5_4
; %bb.1:
	v_mad_nc_i64_i32 v[56:57], 0xf0, v43, v[40:41]
	v_mov_b32_e32 v44, 0
	s_mov_b32 s37, 0
	s_get_pc_i64 s[34:35]
	s_add_nc_u64 s[34:35], s[34:35], _Z4EvaliPiiPN2rw7LibraryEi@rel64+4
.LBB5_2:                                ; =>This Inner Loop Header: Depth=1
	v_dual_mov_b32 v2, v47 :: v_dual_ashrrev_i32 v1, 31, v0
	flat_store_b32 v[4:5], v42
	s_wait_xcnt 0x0
	v_dual_mov_b32 v4, v40 :: v_dual_mov_b32 v5, v41
	v_lshl_add_u64 v[58:59], v[0:1], 2, v[56:57]
	v_dual_mov_b32 v1, v46 :: v_dual_mov_b32 v3, v43
	v_mov_b32_e32 v6, v42
	flat_load_b32 v0, v[58:59] offset:806336
	s_swap_pc_i64 s[30:31], s[34:35]
	v_mov_b32_e32 v2, v0
	flat_load_b32 v0, v[58:59] offset:859616
	s_wait_loadcnt_dscnt 0x0
	v_ashrrev_i32_e32 v1, 31, v0
	v_add3_u32 v44, v44, v2, 1
	s_delay_alu instid0(VALU_DEP_2)
	v_lshl_add_u64 v[4:5], v[0:1], 2, v[46:47]
	flat_load_b32 v1, v[4:5]
	s_wait_loadcnt_dscnt 0x0
	v_cmp_lt_i32_e32 vcc_lo, -1, v1
	v_cmp_eq_u32_e64 s0, v1, v42
	s_or_b32 s0, vcc_lo, s0
	s_delay_alu instid0(SALU_CYCLE_1) | instskip(NEXT) | instid1(SALU_CYCLE_1)
	s_and_b32 s0, exec_lo, s0
	s_or_b32 s37, s0, s37
	s_wait_xcnt 0x0
	s_and_not1_b32 exec_lo, exec_lo, s37
	s_cbranch_execnz .LBB5_2
; %bb.3:
	s_or_b32 exec_lo, exec_lo, s37
.LBB5_4:
	s_delay_alu instid0(SALU_CYCLE_1)
	s_or_b32 exec_lo, exec_lo, s36
	v_mov_b32_e32 v0, v44
	s_clause 0xa
	scratch_load_b32 v59, off, s33
	scratch_load_b32 v58, off, s33 offset:4
	scratch_load_b32 v57, off, s33 offset:8
	;; [unrolled: 1-line block ×10, first 2 shown]
	v_readlane_b32 s30, v45, 4
	v_readlane_b32 s31, v45, 5
	;; [unrolled: 1-line block ×6, first 2 shown]
	s_mov_b32 s32, s33
	v_readlane_b32 s0, v45, 6
	s_wait_xcnt 0x0
	s_or_saveexec_b32 s1, -1
	scratch_load_b32 v45, off, s33 offset:44 ; 4-byte Folded Reload
	s_wait_xcnt 0x0
	s_mov_b32 exec_lo, s1
	s_mov_b32 s33, s0
	s_wait_loadcnt 0x0
	s_set_pc_i64 s[30:31]
.Lfunc_end5:
	.size	_Z4EvaliPiiPN2rw7LibraryEi, .Lfunc_end5-_Z4EvaliPiiPN2rw7LibraryEi
                                        ; -- End function
	.set .L_Z4EvaliPiiPN2rw7LibraryEi.num_vgpr, 60
	.set .L_Z4EvaliPiiPN2rw7LibraryEi.num_agpr, 0
	.set .L_Z4EvaliPiiPN2rw7LibraryEi.numbered_sgpr, 38
	.set .L_Z4EvaliPiiPN2rw7LibraryEi.num_named_barrier, 0
	.set .L_Z4EvaliPiiPN2rw7LibraryEi.private_seg_size, 64
	.set .L_Z4EvaliPiiPN2rw7LibraryEi.uses_vcc, 1
	.set .L_Z4EvaliPiiPN2rw7LibraryEi.uses_flat_scratch, 1
	.set .L_Z4EvaliPiiPN2rw7LibraryEi.has_dyn_sized_stack, 0
	.set .L_Z4EvaliPiiPN2rw7LibraryEi.has_recursion, 1
	.set .L_Z4EvaliPiiPN2rw7LibraryEi.has_indirect_call, 0
	.section	.AMDGPU.csdata,"",@progbits
; Function info:
; codeLenInByte = 788
; TotalNumSgprs: 40
; NumVgprs: 60
; ScratchSize: 64
; MemoryBound: 0
	.text
	.protected	_Z12EvaluateNodeiPiS_S_S_S_S_PN2rw3CutES2_S_PNS0_7LibraryEPNS0_9TableNodeEi ; -- Begin function _Z12EvaluateNodeiPiS_S_S_S_S_PN2rw3CutES2_S_PNS0_7LibraryEPNS0_9TableNodeEi
	.globl	_Z12EvaluateNodeiPiS_S_S_S_S_PN2rw3CutES2_S_PNS0_7LibraryEPNS0_9TableNodeEi
	.p2align	8
	.type	_Z12EvaluateNodeiPiS_S_S_S_S_PN2rw3CutES2_S_PNS0_7LibraryEPNS0_9TableNodeEi,@function
_Z12EvaluateNodeiPiS_S_S_S_S_PN2rw3CutES2_S_PNS0_7LibraryEPNS0_9TableNodeEi: ; @_Z12EvaluateNodeiPiS_S_S_S_S_PN2rw3CutES2_S_PNS0_7LibraryEPNS0_9TableNodeEi
; %bb.0:
	s_mov_b64 s[82:83], s[0:1]
	s_load_b32 s0, s[0:1], 0x74
	s_wait_xcnt 0x0
	s_load_b32 s1, s[82:83], 0x0
	s_bfe_u32 s2, ttmp6, 0x4000c
	s_and_b32 s3, ttmp6, 15
	s_add_co_i32 s2, s2, 1
	s_getreg_b32 s4, hwreg(HW_REG_IB_STS2, 6, 4)
	s_mul_i32 s2, ttmp9, s2
	s_mov_b32 s69, 0
	s_add_co_i32 s3, s3, s2
	s_movk_i32 s32, 0x200
	s_wait_kmcnt 0x0
	s_and_b32 s0, s0, 0xffff
	s_cmp_eq_u32 s4, 0
	s_cselect_b32 s2, ttmp9, s3
	s_delay_alu instid0(SALU_CYCLE_1) | instskip(SKIP_1) | instid1(VALU_DEP_1)
	v_mad_u32 v43, s2, s0, v0
	s_mov_b32 s0, exec_lo
	v_cmpx_gt_u32_e64 s1, v43
	s_cbranch_execz .LBB6_72
; %bb.1:
	v_mbcnt_lo_u32_b32 v1, -1, 0
	v_mov_b32_e32 v0, 0
	s_clause 0x1
	s_load_b128 s[0:3], s[82:83], 0x48
	s_load_b96 s[64:66], s[82:83], 0x58
	v_dual_add_nc_u32 v40, 1, v43 :: v_dual_mov_b32 v62, 0
	v_lshlrev_b32_e32 v1, 20, v1
	v_mov_b64_e32 v[88:89], -1
                                        ; implicit-def: $vgpr93 : SGPR spill to VGPR lane
	v_dual_mov_b32 v58, 0x5f5e0ff :: v_dual_mov_b32 v57, -1
	v_mov_b32_e32 v59, -1
	s_delay_alu instid0(VALU_DEP_4)
	v_add_nc_u64_e32 v[46:47], src_flat_scratch_base_lo, v[0:1]
	v_mov_b32_e32 v0, 0xd8
	v_lshlrev_b32_e32 v44, 3, v40
	s_mov_b32 s81, 0x87ffffff
	s_mov_b32 s52, -1
	s_mov_b32 s86, 0
	v_add_nc_u64_e32 v[60:61], src_flat_scratch_base_lo, v[0:1]
	v_mov_b32_e32 v0, 0xe0
	s_mov_b32 s87, 0
	s_get_pc_i64 s[70:71]
	s_add_nc_u64 s[70:71], s[70:71], _Z8CalcMFFCiPN2rw3CutEPiS2_S2_S2_S2_S2_i@rel64+4
	s_get_pc_i64 s[84:85]
	s_add_nc_u64 s[84:85], s[84:85], P@rel64+4
	s_wait_kmcnt 0x0
	s_add_nc_u64 s[0:1], s[2:3], 0xc0870
	v_add_nc_u64_e32 v[76:77], src_flat_scratch_base_lo, v[0:1]
	v_mov_b32_e32 v0, 0x100
	v_writelane_b32 v93, s0, 0
                                        ; implicit-def: $sgpr96
                                        ; implicit-def: $sgpr97
                                        ; implicit-def: $sgpr98
                                        ; implicit-def: $sgpr99
                                        ; implicit-def: $vgpr56
	s_delay_alu instid0(VALU_DEP_2)
	v_add_nc_u64_e32 v[78:79], src_flat_scratch_base_lo, v[0:1]
	v_writelane_b32 v93, s1, 1
	s_branch .LBB6_3
.LBB6_2:                                ;   in Loop: Header=BB6_3 Depth=1
	s_or_b32 exec_lo, exec_lo, s0
	s_delay_alu instid0(SALU_CYCLE_1) | instskip(NEXT) | instid1(SALU_CYCLE_1)
	s_and_b32 s0, exec_lo, s2
	s_or_b32 s86, s0, s86
	s_and_not1_b32 s0, s97, exec_lo
	s_and_b32 s1, s99, exec_lo
	s_and_not1_b32 s2, s96, exec_lo
	s_and_b32 s3, s98, exec_lo
	s_or_b32 s97, s0, s1
	s_or_b32 s96, s2, s3
	s_and_not1_b32 exec_lo, exec_lo, s86
	s_cbranch_execz .LBB6_68
.LBB6_3:                                ; =>This Loop Header: Depth=1
                                        ;     Child Loop BB6_12 Depth 2
                                        ;       Child Loop BB6_25 Depth 3
                                        ;       Child Loop BB6_38 Depth 3
                                        ;     Child Loop BB6_50 Depth 2
	s_load_b512 s[0:15], s[82:83], 0x8
	v_or_b32_e32 v0, s87, v44
	s_wait_kmcnt 0x0
	s_mov_b32 s1, -1
	s_mov_b32 s100, exec_lo
                                        ; implicit-def: $sgpr4
                                        ; implicit-def: $sgpr0
	s_delay_alu instid0(VALU_DEP_1)
	v_mad_nc_i64_i32 v[90:91], v0, 28, s[12:13]
	global_load_u8 v0, v[90:91], off offset:24
	s_wait_loadcnt 0x0
	s_wait_xcnt 0x0
	v_cmpx_ne_u16_e32 0, v0
	s_cbranch_execz .LBB6_66
; %bb.4:                                ;   in Loop: Header=BB6_3 Depth=1
	global_load_b32 v63, v[90:91], off offset:20
	s_mov_b32 s102, exec_lo
                                        ; implicit-def: $sgpr4
                                        ; implicit-def: $sgpr0
	s_wait_loadcnt 0x0
	v_bfe_u32 v92, v63, 27, 4
	s_delay_alu instid0(VALU_DEP_1)
	v_cmp_gt_u32_e64 s101, 3, v92
	s_wait_xcnt 0x0
	v_cmpx_lt_u32_e32 2, v92
	s_cbranch_execz .LBB6_65
; %bb.5:                                ;   in Loop: Header=BB6_3 Depth=1
	s_mov_b32 s0, exec_lo
	v_cmpx_eq_u32_e32 3, v92
	s_cbranch_execz .LBB6_7
; %bb.6:                                ;   in Loop: Header=BB6_3 Depth=1
	v_and_or_b32 v63, v63, s81, 0x20000000
	global_store_b64 v[90:91], v[62:63], off offset:16
.LBB6_7:                                ;   in Loop: Header=BB6_3 Depth=1
	s_wait_xcnt 0x0
	s_or_b32 exec_lo, exec_lo, s0
	s_clause 0x1
	s_load_b512 s[0:15], s[82:83], 0x8
	s_load_b128 s[48:51], s[82:83], 0x48
	v_dual_mov_b32 v0, v40 :: v_dual_mov_b32 v1, v90
	v_dual_mov_b32 v8, v61 :: v_dual_mov_b32 v9, v76
	;; [unrolled: 1-line block ×3, first 2 shown]
	v_mov_b32_e32 v12, v79
	scratch_store_b32 off, v62, off offset:216
	v_mov_b32_e32 v7, v60
	s_wait_kmcnt 0x0
	v_writelane_b32 v93, s0, 2
	v_dual_mov_b32 v2, v91 :: v_dual_mov_b32 v3, s2
	v_dual_mov_b32 v4, s3 :: v_dual_mov_b32 v5, s4
	v_writelane_b32 v93, s1, 3
	v_dual_mov_b32 v6, s5 :: v_dual_mov_b32 v13, s48
	v_mov_b32_e32 v14, s49
	v_writelane_b32 v93, s2, 4
	v_writelane_b32 v93, s3, 5
	;; [unrolled: 1-line block ×14, first 2 shown]
	s_swap_pc_i64 s[30:31], s[70:71]
	v_and_b32_e32 v2, 0xffff, v63
	v_mov_b32_e32 v41, v0
	s_delay_alu instid0(VALU_DEP_3)
	v_readlane_b32 s0, v93, 2
	v_readlane_b32 s10, v93, 12
	;; [unrolled: 1-line block ×3, first 2 shown]
	s_clause 0x1
	global_load_b32 v0, v2, s[50:51] offset:262144 scale_offset
	global_load_b32 v72, v2, s[50:51] offset:524672 scale_offset
	s_mov_b32 s53, s52
	s_mov_b32 s54, s52
	;; [unrolled: 1-line block ×3, first 2 shown]
	v_readlane_b32 s2, v93, 4
	v_readlane_b32 s4, v93, 6
	;; [unrolled: 1-line block ×3, first 2 shown]
	s_mov_b32 s4, -1
	s_mov_b32 s2, -1
	s_mov_b32 s5, exec_lo
	v_readlane_b32 s1, v93, 3
	v_readlane_b32 s3, v93, 5
	;; [unrolled: 1-line block ×10, first 2 shown]
	s_wait_loadcnt 0x1
	global_load_b128 v[4:7], v0, s[50:51] offset:524288 scale_offset
	s_wait_loadcnt 0x1
	global_load_b32 v12, v72, s[50:51] offset:786816 scale_offset
	s_wait_loadcnt 0x1
	v_dual_mov_b32 v10, v7 :: v_dual_ashrrev_i32 v73, 31, v72
	s_wait_xcnt 0x1
	v_dual_mov_b32 v0, v4 :: v_dual_ashrrev_i32 v1, 31, v4
	v_dual_mov_b32 v8, v5 :: v_dual_ashrrev_i32 v9, 31, v5
	;; [unrolled: 1-line block ×3, first 2 shown]
	v_ashrrev_i32_e32 v11, 31, v7
	s_delay_alu instid0(VALU_DEP_4) | instskip(NEXT) | instid1(VALU_DEP_4)
	v_lshl_add_u64 v[0:1], v[0:1], 2, v[90:91]
	v_lshl_add_u64 v[8:9], v[8:9], 2, v[90:91]
	s_delay_alu instid0(VALU_DEP_4) | instskip(NEXT) | instid1(VALU_DEP_4)
	v_lshl_add_u64 v[14:15], v[4:5], 2, v[90:91]
	v_lshl_add_u64 v[10:11], v[10:11], 2, v[90:91]
	s_clause 0x3
	global_load_b32 v4, v[0:1], off offset:4
	global_load_b32 v5, v[8:9], off offset:4
	global_load_b32 v6, v[14:15], off offset:4
	global_load_b32 v7, v[10:11], off offset:4
	s_wait_xcnt 0x1
	v_mov_b64_e32 v[14:15], s[52:53]
	v_mov_b64_e32 v[16:17], s[54:55]
	v_lshl_add_u64 v[0:1], v[72:73], 2, s[50:51]
	s_wait_loadcnt 0x3
	global_load_b32 v8, v4, s[10:11] scale_offset
	s_wait_loadcnt 0x3
	global_load_b32 v9, v5, s[10:11] scale_offset
	;; [unrolled: 2-line block ×4, first 2 shown]
	s_clause 0x1c
	scratch_store_b128 off, v[14:17], off offset:288
	scratch_store_b128 off, v[14:17], off offset:304
	scratch_store_b128 off, v[14:17], off
	scratch_store_b128 off, v[14:17], off offset:16
	scratch_store_b128 off, v[14:17], off offset:336
	;; [unrolled: 1-line block ×21, first 2 shown]
	scratch_store_b64 off, v[88:89], off offset:496
	scratch_store_b64 off, v[88:89], off offset:208
	scratch_store_b128 off, v[14:17], off offset:32
	scratch_store_b128 off, v[4:7], off
	scratch_store_b128 off, v[14:17], off offset:320
	s_wait_loadcnt 0x0
	scratch_store_b128 off, v[8:11], off offset:288
	s_wait_xcnt 0x0
	v_cmpx_lt_i32_e32 0, v12
	s_cbranch_execz .LBB6_46
; %bb.8:                                ;   in Loop: Header=BB6_3 Depth=1
	s_load_b128 s[0:3], s[82:83], 0x48
	v_dual_mov_b32 v3, v62 :: v_dual_lshlrev_b32 v2, 2, v2
	v_mad_nc_i64_i32 v[4:5], 0xec, v72, v[0:1]
	s_mov_b32 s6, 0
                                        ; implicit-def: $sgpr7
                                        ; implicit-def: $sgpr8
                                        ; implicit-def: $sgpr9
	s_delay_alu instid0(SALU_CYCLE_1)
	s_mov_b32 s68, s6
	s_wait_kmcnt 0x0
	v_add_nc_u64_e32 v[2:3], s[2:3], v[2:3]
	global_load_b32 v6, v[2:3], off
	scratch_load_b32 v13, off, off offset:216
	global_load_b64 v[2:3], v62, s[84:85]
	s_wait_loadcnt 0x2
	v_dual_mov_b32 v7, v62 :: v_dual_bitop2_b32 v6, 15, v6 bitop3:0x40
	s_wait_loadcnt 0x1
	v_cmp_lt_i32_e64 s0, 0, v13
	s_branch .LBB6_12
.LBB6_9:                                ;   in Loop: Header=BB6_12 Depth=2
	s_wait_xcnt 0x0
	s_or_b32 exec_lo, exec_lo, s12
	s_add_co_i32 s68, s68, 1
	s_xor_b32 s2, exec_lo, -1
	v_cmp_eq_u32_e32 vcc_lo, s68, v12
	s_or_not1_b32 s1, vcc_lo, exec_lo
.LBB6_10:                               ;   in Loop: Header=BB6_12 Depth=2
	s_or_b32 exec_lo, exec_lo, s11
	s_delay_alu instid0(SALU_CYCLE_1)
	s_and_not1_b32 s3, s9, exec_lo
	s_and_b32 s2, s2, exec_lo
	s_and_not1_b32 s8, s8, exec_lo
	s_and_b32 s1, s1, exec_lo
	s_or_b32 s9, s3, s2
	s_or_b32 s8, s8, s1
.LBB6_11:                               ;   in Loop: Header=BB6_12 Depth=2
	s_or_b32 exec_lo, exec_lo, s10
	s_xor_b32 s1, s9, -1
	s_and_b32 s2, exec_lo, s8
	s_delay_alu instid0(SALU_CYCLE_1) | instskip(SKIP_2) | instid1(SALU_CYCLE_1)
	s_or_b32 s6, s2, s6
	s_and_not1_b32 s2, s7, exec_lo
	s_and_b32 s1, s1, exec_lo
	s_or_b32 s7, s2, s1
	s_and_not1_b32 exec_lo, exec_lo, s6
	s_cbranch_execz .LBB6_45
.LBB6_12:                               ;   Parent Loop BB6_3 Depth=1
                                        ; =>  This Loop Header: Depth=2
                                        ;       Child Loop BB6_25 Depth 3
                                        ;       Child Loop BB6_38 Depth 3
	v_lshl_add_u64 v[8:9], s[68:69], 2, v[4:5]
	s_or_b32 s9, s9, exec_lo
	s_or_b32 s8, s8, exec_lo
	s_mov_b32 s10, exec_lo
	global_load_b32 v10, v[8:9], off offset:806352
	s_wait_loadcnt 0x0
	scratch_load_b32 v15, v10, off offset:288 scale_offset
	s_wait_loadcnt 0x0
	v_cmpx_ne_u32_e32 -1, v15
	s_cbranch_execz .LBB6_11
; %bb.13:                               ;   in Loop: Header=BB6_12 Depth=2
	global_load_b32 v11, v[8:9], off offset:859632
	s_mov_b32 s1, -1
	s_mov_b32 s2, -1
	s_mov_b32 s11, exec_lo
	s_wait_loadcnt 0x0
	scratch_load_b32 v16, v11, off offset:288 scale_offset
	s_wait_loadcnt 0x0
	v_cmpx_ne_u32_e32 -1, v16
	s_cbranch_execz .LBB6_10
; %bb.14:                               ;   in Loop: Header=BB6_12 Depth=2
	scratch_load_b32 v14, v10, off scale_offset
	v_max_i32_e32 v15, v15, v16
	s_lshl_b32 s13, s68, 2
	s_mov_b32 s12, exec_lo
	s_add_co_i32 s14, s13, 0x120
	s_delay_alu instid0(VALU_DEP_1)
	v_add_nc_u32_e32 v15, 1, v15
	scratch_store_b32 off, v15, s14 offset:16
	s_wait_loadcnt 0x0
	v_cmpx_ne_u32_e32 -1, v14
	s_cbranch_execz .LBB6_9
; %bb.15:                               ;   in Loop: Header=BB6_12 Depth=2
	scratch_load_b32 v18, v11, off scale_offset
	v_cmp_ne_u32_e64 s1, v14, v40
	s_wait_loadcnt 0x0
	v_cmp_ne_u32_e32 vcc_lo, -1, v18
	v_cmp_ne_u32_e64 s2, v18, v40
	s_and_b32 s1, s1, vcc_lo
	s_delay_alu instid0(SALU_CYCLE_1)
	s_and_b32 s1, s2, s1
	s_wait_xcnt 0x0
	s_and_b32 exec_lo, exec_lo, s1
	s_cbranch_execz .LBB6_9
; %bb.16:                               ;   in Loop: Header=BB6_12 Depth=2
	s_clause 0x1
	global_load_b32 v15, v[8:9], off offset:966192
	global_load_b32 v16, v[8:9], off offset:912912
	s_wait_xcnt 0x0
	v_lshrrev_b64 v[8:9], v11, v[6:7]
	v_lshrrev_b64 v[10:11], v10, v[6:7]
	s_mov_b32 s1, exec_lo
	v_mov_b32_e32 v17, v18
	s_wait_loadcnt 0x1
	s_delay_alu instid0(VALU_DEP_3) | instskip(SKIP_1) | instid1(VALU_DEP_3)
	v_bitop3_b32 v8, v15, v8, 1 bitop3:0x78
	s_wait_loadcnt 0x0
	v_bitop3_b32 v15, v16, v10, 1 bitop3:0x78
	s_delay_alu instid0(VALU_DEP_2)
	v_mov_b32_e32 v16, v8
	v_cmpx_gt_i32_e64 v14, v18
; %bb.17:                               ;   in Loop: Header=BB6_12 Depth=2
	s_delay_alu instid0(VALU_DEP_3)
	v_dual_mov_b32 v16, v15 :: v_dual_mov_b32 v15, v8
	v_dual_mov_b32 v17, v14 :: v_dual_mov_b32 v14, v18
; %bb.18:                               ;   in Loop: Header=BB6_12 Depth=2
	s_or_b32 exec_lo, exec_lo, s1
	global_load_b32 v9, v[2:3], off
	v_mul_lo_u32 v8, 0x38f, v15
	v_mul_lo_u32 v10, 0x161, v16
	;; [unrolled: 1-line block ×4, first 2 shown]
	s_mov_b32 s1, exec_lo
	s_delay_alu instid0(VALU_DEP_3) | instskip(NEXT) | instid1(VALU_DEP_1)
	v_xor_b32_e32 v8, v8, v10
	v_xor3_b32 v8, v8, v18, v11
                                        ; implicit-def: $vgpr10_vgpr11
	s_wait_loadcnt 0x0
	v_readfirstlane_b32 s2, v9
	s_delay_alu instid0(VALU_DEP_2)
	v_ashrrev_i32_e32 v9, 31, v8
	s_ashr_i32 s3, s2, 31
	s_delay_alu instid0(VALU_DEP_1) | instid1(SALU_CYCLE_1)
	v_or_b32_e32 v63, s3, v9
	s_wait_xcnt 0x0
	s_delay_alu instid0(VALU_DEP_1)
	v_cmpx_ne_u64_e32 0, v[62:63]
	s_xor_b32 s15, exec_lo, s1
	s_cbranch_execz .LBB6_20
; %bb.19:                               ;   in Loop: Header=BB6_12 Depth=2
	s_cvt_f32_u32 s1, s2
	s_cvt_f32_u32 s16, s3
	s_sub_nc_u64 s[18:19], 0, s[2:3]
	s_mov_b32 s21, s69
	s_mov_b32 s25, s69
	s_fmamk_f32 s1, s16, 0x4f800000, s1
	v_dual_mov_b32 v10, v8 :: v_dual_mov_b32 v11, v62
	v_dual_mov_b32 v18, v9 :: v_dual_mov_b32 v19, v62
	s_delay_alu instid0(SALU_CYCLE_1) | instskip(SKIP_1) | instid1(TRANS32_DEP_1)
	v_s_rcp_f32 s1, s1
	v_mov_b32_e32 v23, v62
	s_mul_f32 s1, s1, 0x5f7ffffc
	s_delay_alu instid0(SALU_CYCLE_3) | instskip(NEXT) | instid1(SALU_CYCLE_3)
	s_mul_f32 s16, s1, 0x2f800000
	s_trunc_f32 s16, s16
	s_delay_alu instid0(SALU_CYCLE_3) | instskip(SKIP_1) | instid1(SALU_CYCLE_2)
	s_fmamk_f32 s1, s16, 0xcf800000, s1
	s_cvt_u32_f32 s17, s16
	s_cvt_u32_f32 s16, s1
	s_delay_alu instid0(SALU_CYCLE_3) | instskip(NEXT) | instid1(SALU_CYCLE_1)
	s_mul_u64 s[22:23], s[18:19], s[16:17]
	s_mul_hi_u32 s27, s16, s23
	s_mul_i32 s26, s16, s23
	s_mul_hi_u32 s20, s16, s22
	s_mul_i32 s24, s17, s22
	s_add_nc_u64 s[20:21], s[20:21], s[26:27]
	s_mul_hi_u32 s1, s17, s22
	s_mul_hi_u32 s28, s17, s23
	s_add_co_u32 s20, s20, s24
	s_add_co_ci_u32 s24, s21, s1
	s_mul_i32 s22, s17, s23
	s_add_co_ci_u32 s23, s28, 0
	s_delay_alu instid0(SALU_CYCLE_1) | instskip(SKIP_3) | instid1(SALU_CYCLE_1)
	s_add_nc_u64 s[20:21], s[24:25], s[22:23]
	s_mov_b32 s23, s69
	s_add_co_u32 s16, s16, s20
	s_cselect_b32 s1, -1, 0
	s_cmp_lg_u32 s1, 0
	s_add_co_ci_u32 s17, s17, s21
	s_mov_b32 s21, s69
	s_mul_u64 s[18:19], s[18:19], s[16:17]
	s_delay_alu instid0(SALU_CYCLE_1)
	s_mul_hi_u32 s25, s16, s19
	s_mul_i32 s24, s16, s19
	s_mul_hi_u32 s20, s16, s18
	s_mul_i32 s22, s17, s18
	s_add_nc_u64 s[20:21], s[20:21], s[24:25]
	s_mul_hi_u32 s1, s17, s18
	s_mul_hi_u32 s26, s17, s19
	s_mul_i32 s18, s17, s19
	s_add_co_u32 s19, s20, s22
	s_add_co_ci_u32 s22, s21, s1
	s_add_co_ci_u32 s19, s26, 0
	s_mov_b32 s21, s69
	s_add_nc_u64 s[18:19], s[22:23], s[18:19]
	s_delay_alu instid0(SALU_CYCLE_1)
	s_add_co_u32 s16, s16, s18
	s_cselect_b32 s1, -1, 0
	v_mul_hi_u32 v22, v8, s16
	s_cmp_lg_u32 s1, 0
	s_add_co_ci_u32 s20, s17, s19
	s_mov_b64 s[18:19], 0xffffffff
	v_mul_u64_e32 v[10:11], s[20:21], v[10:11]
	s_and_b64 s[18:19], s[16:17], s[18:19]
	s_delay_alu instid0(SALU_CYCLE_1) | instskip(SKIP_1) | instid1(VALU_DEP_3)
	v_mul_u64_e32 v[20:21], s[18:19], v[18:19]
	v_mul_u64_e32 v[18:19], s[20:21], v[18:19]
	v_add_nc_u64_e32 v[10:11], v[22:23], v[10:11]
	s_delay_alu instid0(VALU_DEP_1) | instskip(NEXT) | instid1(VALU_DEP_2)
	v_add_co_u32 v10, vcc_lo, v10, v20
	v_add_co_ci_u32_e32 v22, vcc_lo, v11, v21, vcc_lo
	s_delay_alu instid0(VALU_DEP_4) | instskip(NEXT) | instid1(VALU_DEP_1)
	v_add_co_ci_u32_e32 v19, vcc_lo, 0, v19, vcc_lo
	v_add_nc_u64_e32 v[10:11], v[22:23], v[18:19]
	s_delay_alu instid0(VALU_DEP_1) | instskip(NEXT) | instid1(VALU_DEP_1)
	v_mul_u64_e32 v[10:11], s[2:3], v[10:11]
	v_sub_nc_u32_e32 v18, v9, v11
	s_delay_alu instid0(VALU_DEP_2) | instskip(NEXT) | instid1(VALU_DEP_1)
	v_sub_co_u32 v8, vcc_lo, v8, v10
	v_sub_co_ci_u32_e64 v9, null, v9, v11, vcc_lo
	s_delay_alu instid0(VALU_DEP_3) | instskip(NEXT) | instid1(VALU_DEP_3)
	v_subrev_co_ci_u32_e64 v10, null, s3, v18, vcc_lo
	v_sub_co_u32 v11, vcc_lo, v8, s2
	v_cmp_le_u32_e64 s1, s2, v8
	s_delay_alu instid0(VALU_DEP_3) | instskip(SKIP_1) | instid1(VALU_DEP_3)
	v_subrev_co_ci_u32_e64 v18, null, 0, v10, vcc_lo
	v_subrev_co_ci_u32_e64 v10, null, s3, v10, vcc_lo
	v_cndmask_b32_e64 v19, 0, -1, s1
	v_cmp_le_u32_e64 s1, s2, v11
	v_cmp_le_u32_e32 vcc_lo, s3, v9
	s_delay_alu instid0(VALU_DEP_2) | instskip(SKIP_3) | instid1(VALU_DEP_3)
	v_cndmask_b32_e64 v20, 0, -1, s1
	v_cmp_le_u32_e64 s1, s3, v18
	v_cndmask_b32_e64 v22, 0, -1, vcc_lo
	v_cmp_eq_u32_e32 vcc_lo, s3, v18
	v_cndmask_b32_e64 v21, 0, -1, s1
	v_cmp_eq_u32_e64 s1, s3, v9
	s_delay_alu instid0(VALU_DEP_1) | instskip(SKIP_1) | instid1(VALU_DEP_1)
	v_dual_cndmask_b32 v20, v21, v20, vcc_lo :: v_dual_cndmask_b32 v19, v22, v19, s1
	v_sub_co_u32 v21, vcc_lo, v11, s2
	v_subrev_co_ci_u32_e64 v10, null, 0, v10, vcc_lo
	s_delay_alu instid0(VALU_DEP_3) | instskip(NEXT) | instid1(VALU_DEP_2)
	v_cmp_ne_u32_e32 vcc_lo, 0, v20
	v_dual_cndmask_b32 v10, v18, v10, vcc_lo :: v_dual_cndmask_b32 v18, v11, v21, vcc_lo
	v_cmp_ne_u32_e32 vcc_lo, 0, v19
	s_delay_alu instid0(VALU_DEP_2) | instskip(NEXT) | instid1(VALU_DEP_3)
	v_cndmask_b32_e32 v11, v9, v10, vcc_lo
	v_cndmask_b32_e32 v10, v8, v18, vcc_lo
                                        ; implicit-def: $vgpr8_vgpr9
.LBB6_20:                               ;   in Loop: Header=BB6_12 Depth=2
	s_and_not1_saveexec_b32 s1, s15
	s_cbranch_execz .LBB6_22
; %bb.21:                               ;   in Loop: Header=BB6_12 Depth=2
	v_cvt_f32_u32_e32 v9, s2
	s_sub_co_i32 s3, 0, s2
	v_mov_b32_e32 v11, v62
	s_delay_alu instid0(VALU_DEP_2) | instskip(SKIP_1) | instid1(TRANS32_DEP_1)
	v_rcp_iflag_f32_e32 v9, v9
	v_nop
	v_mul_f32_e32 v9, 0x4f7ffffe, v9
	s_delay_alu instid0(VALU_DEP_1) | instskip(NEXT) | instid1(VALU_DEP_1)
	v_cvt_u32_f32_e32 v9, v9
	v_mul_lo_u32 v10, s3, v9
	s_delay_alu instid0(VALU_DEP_1) | instskip(NEXT) | instid1(VALU_DEP_1)
	v_mul_hi_u32 v10, v9, v10
	v_add_nc_u32_e32 v9, v9, v10
	s_delay_alu instid0(VALU_DEP_1) | instskip(NEXT) | instid1(VALU_DEP_1)
	v_mul_hi_u32 v9, v8, v9
	v_mul_lo_u32 v9, v9, s2
	s_delay_alu instid0(VALU_DEP_1) | instskip(NEXT) | instid1(VALU_DEP_1)
	v_sub_nc_u32_e32 v8, v8, v9
	v_subrev_nc_u32_e32 v9, s2, v8
	v_cmp_le_u32_e32 vcc_lo, s2, v8
	s_delay_alu instid0(VALU_DEP_2) | instskip(NEXT) | instid1(VALU_DEP_1)
	v_cndmask_b32_e32 v8, v8, v9, vcc_lo
	v_subrev_nc_u32_e32 v9, s2, v8
	v_cmp_le_u32_e32 vcc_lo, s2, v8
	s_delay_alu instid0(VALU_DEP_2)
	v_cndmask_b32_e32 v10, v8, v9, vcc_lo
.LBB6_22:                               ;   in Loop: Header=BB6_12 Depth=2
	s_or_b32 exec_lo, exec_lo, s1
	s_mov_b32 s1, 0
                                        ; implicit-def: $sgpr2
                                        ; implicit-def: $vgpr18
	s_branch .LBB6_25
.LBB6_23:                               ;   in Loop: Header=BB6_25 Depth=3
	s_or_b32 exec_lo, exec_lo, s17
	s_xor_b32 s15, s16, -1
	s_and_not1_b32 s2, s2, exec_lo
	s_and_b32 s15, s15, exec_lo
	s_delay_alu instid0(SALU_CYCLE_1)
	s_or_b32 s2, s2, s15
.LBB6_24:                               ;   in Loop: Header=BB6_25 Depth=3
	s_or_b32 exec_lo, exec_lo, s3
	v_mov_b32_e32 v18, v8
	s_and_b32 s3, exec_lo, s2
	s_delay_alu instid0(SALU_CYCLE_1) | instskip(NEXT) | instid1(SALU_CYCLE_1)
	s_or_b32 s1, s3, s1
	s_and_not1_b32 exec_lo, exec_lo, s1
	s_cbranch_execz .LBB6_34
.LBB6_25:                               ;   Parent Loop BB6_3 Depth=1
                                        ;     Parent Loop BB6_12 Depth=2
                                        ; =>    This Inner Loop Header: Depth=3
	s_delay_alu instid0(VALU_DEP_1)
	v_lshl_add_u64 v[8:9], v[10:11], 3, s[64:65]
	s_or_b32 s2, s2, exec_lo
	s_mov_b32 s3, exec_lo
	global_load_b32 v10, v[8:9], off offset:4
	s_wait_xcnt 0x0
	v_mov_b32_e32 v8, -1
	s_wait_loadcnt 0x0
	v_cmpx_ne_u32_e32 -1, v10
	s_cbranch_execz .LBB6_24
; %bb.26:                               ;   in Loop: Header=BB6_25 Depth=3
	v_ashrrev_i32_e32 v11, 31, v10
	s_load_b512 s[16:31], s[82:83], 0x8
	s_wait_kmcnt 0x0
	s_mov_b32 s16, exec_lo
	s_delay_alu instid0(VALU_DEP_1)
	v_lshl_add_u64 v[8:9], v[10:11], 3, s[64:65]
	global_load_b32 v8, v[8:9], off
	s_wait_loadcnt 0x0
	global_load_b32 v9, v8, s[18:19] scale_offset
	s_wait_loadcnt 0x0
	v_cmp_ne_u32_e64 s15, v9, v14
	s_wait_xcnt 0x0
	v_cmpx_eq_u32_e64 v9, v14
	s_cbranch_execz .LBB6_32
; %bb.27:                               ;   in Loop: Header=BB6_25 Depth=3
	s_load_b512 s[36:51], s[82:83], 0x8
	v_ashrrev_i32_e32 v9, 31, v8
	s_mov_b32 s18, exec_lo
	s_wait_kmcnt 0x0
	s_delay_alu instid0(VALU_DEP_1)
	v_lshl_add_u64 v[20:21], v[8:9], 2, s[40:41]
	global_load_b32 v19, v[20:21], off
	s_wait_loadcnt 0x0
	v_cmp_ne_u32_e64 s17, v19, v17
	s_wait_xcnt 0x0
	v_cmpx_eq_u32_e64 v19, v17
	s_cbranch_execz .LBB6_31
; %bb.28:                               ;   in Loop: Header=BB6_25 Depth=3
	s_load_b512 s[36:51], s[82:83], 0x8
	s_mov_b32 s20, exec_lo
	s_wait_kmcnt 0x0
	v_lshl_add_u64 v[20:21], v[8:9], 2, s[42:43]
	global_load_b32 v19, v[20:21], off
	s_wait_loadcnt 0x0
	v_cmp_ne_u32_e64 s19, v19, v15
	s_wait_xcnt 0x0
	v_cmpx_eq_u32_e64 v19, v15
	s_cbranch_execz .LBB6_30
; %bb.29:                               ;   in Loop: Header=BB6_25 Depth=3
	s_load_b512 s[36:51], s[82:83], 0x8
	s_and_not1_b32 s19, s19, exec_lo
	s_wait_kmcnt 0x0
	v_lshl_add_u64 v[20:21], v[8:9], 2, s[44:45]
	global_load_b32 v9, v[20:21], off
	s_wait_loadcnt 0x0
	v_cmp_ne_u32_e32 vcc_lo, v9, v16
	s_and_b32 s21, vcc_lo, exec_lo
	s_delay_alu instid0(SALU_CYCLE_1)
	s_or_b32 s19, s19, s21
.LBB6_30:                               ;   in Loop: Header=BB6_25 Depth=3
	s_wait_xcnt 0x0
	s_or_b32 exec_lo, exec_lo, s20
	s_delay_alu instid0(SALU_CYCLE_1) | instskip(SKIP_1) | instid1(SALU_CYCLE_1)
	s_and_not1_b32 s17, s17, exec_lo
	s_and_b32 s19, s19, exec_lo
	s_or_b32 s17, s17, s19
.LBB6_31:                               ;   in Loop: Header=BB6_25 Depth=3
	s_or_b32 exec_lo, exec_lo, s18
	s_delay_alu instid0(SALU_CYCLE_1) | instskip(SKIP_1) | instid1(SALU_CYCLE_1)
	s_and_not1_b32 s15, s15, exec_lo
	s_and_b32 s17, s17, exec_lo
	s_or_b32 s15, s15, s17
.LBB6_32:                               ;   in Loop: Header=BB6_25 Depth=3
	s_or_b32 exec_lo, exec_lo, s16
	s_mov_b32 s16, 0
	s_and_saveexec_b32 s17, s15
	s_cbranch_execz .LBB6_23
; %bb.33:                               ;   in Loop: Header=BB6_25 Depth=3
	v_mov_b32_e32 v8, v18
	s_mov_b32 s16, exec_lo
	s_branch .LBB6_23
.LBB6_34:                               ;   in Loop: Header=BB6_12 Depth=2
	s_or_b32 exec_lo, exec_lo, s1
	v_cmp_ne_u32_e32 vcc_lo, -1, v8
	s_and_b32 exec_lo, exec_lo, vcc_lo
	s_cbranch_execz .LBB6_9
; %bb.35:                               ;   in Loop: Header=BB6_12 Depth=2
	s_mov_b32 s2, -1
	s_and_saveexec_b32 s1, s0
	s_cbranch_execz .LBB6_43
; %bb.36:                               ;   in Loop: Header=BB6_12 Depth=2
	s_movk_i32 s3, 0xe0
	s_mov_b32 s2, 0
	s_mov_b32 s18, 0
                                        ; implicit-def: $sgpr15
                                        ; implicit-def: $sgpr17
                                        ; implicit-def: $sgpr16
	s_branch .LBB6_38
.LBB6_37:                               ;   in Loop: Header=BB6_38 Depth=3
	s_or_b32 exec_lo, exec_lo, s20
	s_delay_alu instid0(SALU_CYCLE_1) | instskip(SKIP_4) | instid1(SALU_CYCLE_1)
	s_and_b32 s20, exec_lo, s17
	v_mov_b32_e32 v9, s18
	s_or_b32 s2, s20, s2
	s_and_not1_b32 s15, s15, exec_lo
	s_and_b32 s18, s16, exec_lo
	s_or_b32 s15, s15, s18
	s_mov_b32 s18, s19
	s_and_not1_b32 exec_lo, exec_lo, s2
	s_cbranch_execz .LBB6_40
.LBB6_38:                               ;   Parent Loop BB6_3 Depth=1
                                        ;     Parent Loop BB6_12 Depth=2
                                        ; =>    This Inner Loop Header: Depth=3
	scratch_load_b32 v9, off, s3
	s_or_b32 s16, s16, exec_lo
	s_or_b32 s17, s17, exec_lo
	s_mov_b32 s20, exec_lo
                                        ; implicit-def: $sgpr19
	s_wait_loadcnt 0x0
	v_cmpx_ne_u32_e64 v9, v8
	s_cbranch_execz .LBB6_37
; %bb.39:                               ;   in Loop: Header=BB6_38 Depth=3
	s_add_co_i32 s19, s18, 1
	s_and_not1_b32 s17, s17, exec_lo
	v_cmp_eq_u32_e32 vcc_lo, s19, v13
	s_add_co_i32 s3, s3, 4
	s_and_not1_b32 s16, s16, exec_lo
	s_and_b32 s21, vcc_lo, exec_lo
	s_delay_alu instid0(SALU_CYCLE_1)
	s_or_b32 s17, s17, s21
	s_branch .LBB6_37
.LBB6_40:                               ;   in Loop: Header=BB6_12 Depth=2
	s_or_b32 exec_lo, exec_lo, s2
	s_mov_b32 s2, -1
	s_and_saveexec_b32 s3, s15
	s_delay_alu instid0(SALU_CYCLE_1)
	s_xor_b32 s3, exec_lo, s3
	s_cbranch_execz .LBB6_42
; %bb.41:                               ;   in Loop: Header=BB6_12 Depth=2
	scratch_load_b32 v9, v9, off offset:256 scale_offset
	s_wait_loadcnt 0x0
	v_cmp_ne_u32_e32 vcc_lo, 0, v9
	s_or_not1_b32 s2, vcc_lo, exec_lo
.LBB6_42:                               ;   in Loop: Header=BB6_12 Depth=2
	s_wait_xcnt 0x0
	s_or_b32 exec_lo, exec_lo, s3
	s_delay_alu instid0(SALU_CYCLE_1)
	s_or_not1_b32 s2, s2, exec_lo
.LBB6_43:                               ;   in Loop: Header=BB6_12 Depth=2
	s_or_b32 exec_lo, exec_lo, s1
	s_delay_alu instid0(SALU_CYCLE_1)
	s_and_b32 exec_lo, exec_lo, s2
	s_cbranch_execz .LBB6_9
; %bb.44:                               ;   in Loop: Header=BB6_12 Depth=2
	s_load_b512 s[16:31], s[82:83], 0x8
	s_wait_kmcnt 0x0
	global_load_b32 v9, v8, s[26:27] scale_offset
	scratch_store_b32 off, v8, s13 offset:16
	s_wait_loadcnt 0x0
	scratch_store_b32 off, v9, s14 offset:16
	s_branch .LBB6_9
.LBB6_45:                               ;   in Loop: Header=BB6_3 Depth=1
	s_or_b32 exec_lo, exec_lo, s6
	s_delay_alu instid0(SALU_CYCLE_1)
	s_or_not1_b32 s2, s7, exec_lo
.LBB6_46:                               ;   in Loop: Header=BB6_3 Depth=1
	s_or_b32 exec_lo, exec_lo, s5
	s_mov_b32 s0, 0
	s_mov_b32 s1, s101
	s_and_saveexec_b32 s3, s2
	s_delay_alu instid0(SALU_CYCLE_1)
	s_xor_b32 s53, exec_lo, s3
	s_cbranch_execz .LBB6_64
; %bb.47:                               ;   in Loop: Header=BB6_3 Depth=1
	global_load_b32 v63, v[0:1], off offset:787704
	s_mov_b32 s0, -1
	s_mov_b32 s54, exec_lo
	s_wait_loadcnt 0x0
	v_cmpx_lt_i32_e32 0, v63
	s_cbranch_execz .LBB6_61
; %bb.48:                               ;   in Loop: Header=BB6_3 Depth=1
	v_readlane_b32 s0, v93, 0
	v_readlane_b32 s1, v93, 1
	s_mov_b32 s68, -2
	s_mov_b32 s55, 0
	s_mov_b32 s103, 0
                                        ; implicit-def: $sgpr104
	v_mad_nc_i64_i32 v[74:75], 0x50, v72, s[0:1]
	s_branch .LBB6_50
.LBB6_49:                               ;   in Loop: Header=BB6_50 Depth=2
	s_or_b32 exec_lo, exec_lo, s2
	s_xor_b32 s0, s1, -1
	s_and_b32 s1, exec_lo, s67
	s_delay_alu instid0(SALU_CYCLE_1) | instskip(SKIP_2) | instid1(SALU_CYCLE_1)
	s_or_b32 s55, s1, s55
	s_and_not1_b32 s1, s104, exec_lo
	s_and_b32 s0, s0, exec_lo
	s_or_b32 s104, s1, s0
	s_and_not1_b32 exec_lo, exec_lo, s55
	s_cbranch_execz .LBB6_60
.LBB6_50:                               ;   Parent Loop BB6_3 Depth=1
                                        ; =>  This Inner Loop Header: Depth=2
	global_load_b32 v42, v[74:75], off
	s_mov_b32 s67, -1
	s_mov_b32 s0, -1
	s_mov_b32 s80, exec_lo
	s_wait_loadcnt 0x0
	scratch_load_b32 v0, v42, off scale_offset
	s_wait_loadcnt 0x0
	v_cmpx_ne_u32_e64 v0, v40
	s_cbranch_execz .LBB6_58
; %bb.51:                               ;   in Loop: Header=BB6_50 Depth=2
	s_load_b128 s[4:7], s[82:83], 0x48
	v_dual_mov_b32 v0, v42 :: v_dual_mov_b32 v1, v46
	v_dual_mov_b32 v2, v47 :: v_dual_mov_b32 v3, v72
	v_mov_b32_e32 v6, s68
	s_get_pc_i64 s[0:1]
	s_add_nc_u64 s[0:1], s[0:1], _Z4EvaliPiiPN2rw7LibraryEi@rel64+4
	s_wait_kmcnt 0x0
	v_dual_mov_b32 v4, s6 :: v_dual_mov_b32 v5, s7
	s_swap_pc_i64 s[30:31], s[0:1]
	scratch_load_b32 v1, v42, off offset:288 scale_offset
	s_mov_b32 s0, 0
	s_mov_b32 s1, exec_lo
	s_wait_loadcnt 0x0
	v_cmpx_ne_u32_e32 -1, v1
	s_cbranch_execz .LBB6_57
; %bb.52:                               ;   in Loop: Header=BB6_50 Depth=2
	v_dual_sub_nc_u32 v0, v41, v0 :: v_dual_max_i32 v3, 0, v59
	s_delay_alu instid0(VALU_DEP_1) | instskip(NEXT) | instid1(VALU_DEP_2)
	v_or_b32_e32 v2, s66, v0
	v_cmp_le_i32_e64 s0, v3, v0
	s_delay_alu instid0(VALU_DEP_2) | instskip(SKIP_1) | instid1(SALU_CYCLE_1)
	v_cmp_ne_u32_e32 vcc_lo, 0, v2
	s_and_b32 s0, s0, vcc_lo
	s_and_saveexec_b32 s2, s0
	s_cbranch_execz .LBB6_56
; %bb.53:                               ;   in Loop: Header=BB6_50 Depth=2
	v_cmp_ne_u32_e32 vcc_lo, v0, v59
	v_cmp_lt_i32_e64 s0, v1, v58
	s_or_b32 s3, vcc_lo, s0
	s_delay_alu instid0(SALU_CYCLE_1)
	s_and_saveexec_b32 s0, s3
; %bb.54:                               ;   in Loop: Header=BB6_50 Depth=2
	v_dual_mov_b32 v57, s87 :: v_dual_mov_b32 v56, s103
	v_dual_mov_b32 v59, v0 :: v_dual_mov_b32 v58, v1
; %bb.55:                               ;   in Loop: Header=BB6_50 Depth=2
	s_or_b32 exec_lo, exec_lo, s0
.LBB6_56:                               ;   in Loop: Header=BB6_50 Depth=2
	s_delay_alu instid0(SALU_CYCLE_1) | instskip(NEXT) | instid1(SALU_CYCLE_1)
	s_or_b32 exec_lo, exec_lo, s2
	s_mov_b32 s0, exec_lo
.LBB6_57:                               ;   in Loop: Header=BB6_50 Depth=2
	s_or_b32 exec_lo, exec_lo, s1
	s_delay_alu instid0(SALU_CYCLE_1)
	s_or_not1_b32 s0, s0, exec_lo
.LBB6_58:                               ;   in Loop: Header=BB6_50 Depth=2
	s_or_b32 exec_lo, exec_lo, s80
	s_mov_b32 s1, -1
	s_and_saveexec_b32 s2, s0
	s_cbranch_execz .LBB6_49
; %bb.59:                               ;   in Loop: Header=BB6_50 Depth=2
	s_add_co_i32 s103, s103, 1
	v_add_nc_u64_e32 v[74:75], 4, v[74:75]
	v_cmp_eq_u32_e32 vcc_lo, s103, v63
	s_add_co_i32 s68, s68, -1
	s_xor_b32 s1, exec_lo, -1
	s_or_not1_b32 s67, vcc_lo, exec_lo
	s_branch .LBB6_49
.LBB6_60:                               ;   in Loop: Header=BB6_3 Depth=1
	s_or_b32 exec_lo, exec_lo, s55
	s_delay_alu instid0(SALU_CYCLE_1)
	s_or_not1_b32 s0, s104, exec_lo
.LBB6_61:                               ;   in Loop: Header=BB6_3 Depth=1
	s_or_b32 exec_lo, exec_lo, s54
	s_mov_b32 s1, s101
	s_and_saveexec_b32 s2, s0
	s_cbranch_execz .LBB6_63
; %bb.62:                               ;   in Loop: Header=BB6_3 Depth=1
	global_load_b32 v0, v[90:91], off offset:20
	v_lshlrev_b32_e32 v1, 27, v92
	s_or_b32 s1, s101, exec_lo
	s_wait_loadcnt 0x0
	s_delay_alu instid0(VALU_DEP_1)
	v_and_or_b32 v0, 0x87ffffff, v0, v1
	global_store_b32 v[90:91], v0, off offset:20
.LBB6_63:                               ;   in Loop: Header=BB6_3 Depth=1
	s_wait_xcnt 0x0
	s_or_b32 exec_lo, exec_lo, s2
	s_delay_alu instid0(SALU_CYCLE_1)
	s_and_not1_b32 s2, s101, exec_lo
	s_and_b32 s1, s1, exec_lo
	s_mov_b32 s0, exec_lo
	s_xor_b32 s4, exec_lo, -1
	s_or_b32 s1, s2, s1
.LBB6_64:                               ;   in Loop: Header=BB6_3 Depth=1
	s_or_b32 exec_lo, exec_lo, s53
	s_delay_alu instid0(SALU_CYCLE_1) | instskip(SKIP_1) | instid1(SALU_CYCLE_1)
	s_and_not1_b32 s2, s101, exec_lo
	s_and_b32 s1, s1, exec_lo
	s_or_b32 s101, s2, s1
.LBB6_65:                               ;   in Loop: Header=BB6_3 Depth=1
	s_or_b32 exec_lo, exec_lo, s102
	s_delay_alu instid0(SALU_CYCLE_1)
	s_or_not1_b32 s1, s101, exec_lo
.LBB6_66:                               ;   in Loop: Header=BB6_3 Depth=1
	s_or_b32 exec_lo, exec_lo, s100
	s_delay_alu instid0(SALU_CYCLE_1)
	s_and_not1_b32 s3, s99, exec_lo
	s_and_b32 s0, s0, exec_lo
	s_and_not1_b32 s5, s98, exec_lo
	s_and_b32 s4, s4, exec_lo
	s_mov_b32 s2, -1
	s_or_b32 s99, s3, s0
	s_or_b32 s98, s5, s4
	s_and_saveexec_b32 s0, s1
	s_cbranch_execz .LBB6_2
; %bb.67:                               ;   in Loop: Header=BB6_3 Depth=1
	s_add_co_i32 s87, s87, 1
	s_delay_alu instid0(SALU_CYCLE_1)
	s_cmp_eq_u32 s87, 8
	s_cselect_b32 s1, -1, 0
	s_and_not1_b32 s99, s99, exec_lo
	s_and_not1_b32 s98, s98, exec_lo
	s_or_not1_b32 s2, s1, exec_lo
	s_branch .LBB6_2
.LBB6_68:
	s_or_b32 exec_lo, exec_lo, s86
	s_xor_b32 s0, s97, -1
	s_xor_b32 s1, s96, -1
	s_mov_b32 s22, 0
	s_and_saveexec_b32 s2, s1
	s_delay_alu instid0(SALU_CYCLE_1)
	s_xor_b32 s21, exec_lo, s2
	s_cbranch_execnz .LBB6_73
; %bb.69:
	s_and_not1_saveexec_b32 s21, s21
	s_cbranch_execnz .LBB6_82
.LBB6_70:
	s_or_b32 exec_lo, exec_lo, s21
	s_delay_alu instid0(SALU_CYCLE_1)
	s_and_b32 exec_lo, exec_lo, s22
.LBB6_71:
	; divergent unreachable
.LBB6_72:
	s_endpgm
.LBB6_73:
	s_and_saveexec_b32 s1, s0
	s_delay_alu instid0(SALU_CYCLE_1)
	s_xor_b32 s0, exec_lo, s1
	s_cbranch_execz .LBB6_79
; %bb.74:
	s_load_b512 s[4:19], s[82:83], 0x8
	s_mov_b32 s1, exec_lo
	s_wait_kmcnt 0x0
	v_mad_nc_i64_i32 v[0:1], v43, 28, s[18:19]
	v_cmpx_ne_u32_e32 -1, v57
	s_xor_b32 s1, exec_lo, s1
	s_cbranch_execz .LBB6_76
; %bb.75:
	v_add_nc_u32_e32 v2, v57, v44
	s_delay_alu instid0(VALU_DEP_1)
	v_mad_nc_i64_i32 v[10:11], v2, 28, s[16:17]
	s_clause 0x1
	global_load_b128 v[2:5], v[10:11], off offset:12
	global_load_b128 v[6:9], v[10:11], off
	s_wait_xcnt 0x0
	v_mov_b32_e32 v10, 1
	s_wait_loadcnt 0x1
	global_store_b128 v[0:1], v[2:5], off offset:40
	s_wait_loadcnt 0x0
	s_clause 0x1
	global_store_b128 v[0:1], v[6:9], off offset:28
	global_store_b8 v[0:1], v10, off offset:52
	global_store_b32 v43, v56, s[4:5] offset:4 scale_offset
                                        ; implicit-def: $vgpr0_vgpr1
.LBB6_76:
	s_wait_xcnt 0x0
	s_and_not1_saveexec_b32 s1, s1
	s_cbranch_execz .LBB6_78
; %bb.77:
	v_mov_b32_e32 v2, 0
	global_store_b8 v[0:1], v2, off offset:52
.LBB6_78:
	s_wait_xcnt 0x0
	s_or_b32 exec_lo, exec_lo, s1
.LBB6_79:
	s_or_saveexec_b32 s22, s0
	s_mov_b32 s0, 0
	s_xor_b32 exec_lo, exec_lo, s22
	s_cbranch_execz .LBB6_81
; %bb.80:
	s_get_pc_i64 s[0:1]
	s_add_nc_u64 s[0:1], s[0:1], .str.2@rel64+4
	s_get_pc_i64 s[2:3]
	s_add_nc_u64 s[2:3], s[2:3], __PRETTY_FUNCTION__._Z12EvaluateNodeiPiS_S_S_S_S_PN2rw3CutES2_S_PNS0_7LibraryEPNS0_9TableNodeEi@rel64+4
	v_dual_mov_b32 v0, s0 :: v_dual_mov_b32 v1, s1
	v_dual_mov_b32 v2, 0x1a6 :: v_dual_mov_b32 v3, s2
	v_mov_b32_e32 v4, s3
	s_add_nc_u64 s[8:9], s[82:83], 0x68
	s_get_pc_i64 s[4:5]
	s_add_nc_u64 s[4:5], s[4:5], __assert_fail@rel64+4
	s_delay_alu instid0(SALU_CYCLE_1)
	s_swap_pc_i64 s[30:31], s[4:5]
	s_mov_b32 s0, exec_lo
.LBB6_81:
	s_or_b32 exec_lo, exec_lo, s22
	s_delay_alu instid0(SALU_CYCLE_1)
	s_and_b32 s22, s0, exec_lo
	s_and_not1_saveexec_b32 s21, s21
	s_cbranch_execz .LBB6_70
.LBB6_82:
	s_get_pc_i64 s[0:1]
	s_add_nc_u64 s[0:1], s[0:1], .str@rel64+4
	s_get_pc_i64 s[2:3]
	s_add_nc_u64 s[2:3], s[2:3], __PRETTY_FUNCTION__._Z12EvaluateNodeiPiS_S_S_S_S_PN2rw3CutES2_S_PNS0_7LibraryEPNS0_9TableNodeEi@rel64+4
	v_dual_mov_b32 v0, s0 :: v_dual_mov_b32 v1, s1
	v_dual_mov_b32 v2, 0x197 :: v_dual_mov_b32 v3, s2
	v_mov_b32_e32 v4, s3
	s_add_nc_u64 s[8:9], s[82:83], 0x68
	s_get_pc_i64 s[4:5]
	s_add_nc_u64 s[4:5], s[4:5], __assert_fail@rel64+4
	s_delay_alu instid0(SALU_CYCLE_1) | instskip(SKIP_2) | instid1(SALU_CYCLE_1)
	s_swap_pc_i64 s[30:31], s[4:5]
	s_or_b32 s22, s22, exec_lo
	s_or_b32 exec_lo, exec_lo, s21
	s_and_b32 exec_lo, exec_lo, s22
	s_cbranch_execnz .LBB6_71
	s_branch .LBB6_72
	.section	.rodata,"a",@progbits
	.p2align	6, 0x0
	.amdhsa_kernel _Z12EvaluateNodeiPiS_S_S_S_S_PN2rw3CutES2_S_PNS0_7LibraryEPNS0_9TableNodeEi
		.amdhsa_group_segment_fixed_size 0
		.amdhsa_private_segment_fixed_size 608
		.amdhsa_kernarg_size 360
		.amdhsa_user_sgpr_count 2
		.amdhsa_user_sgpr_dispatch_ptr 0
		.amdhsa_user_sgpr_queue_ptr 0
		.amdhsa_user_sgpr_kernarg_segment_ptr 1
		.amdhsa_user_sgpr_dispatch_id 0
		.amdhsa_user_sgpr_kernarg_preload_length 0
		.amdhsa_user_sgpr_kernarg_preload_offset 0
		.amdhsa_user_sgpr_private_segment_size 0
		.amdhsa_wavefront_size32 1
		.amdhsa_uses_dynamic_stack 1
		.amdhsa_enable_private_segment 1
		.amdhsa_system_sgpr_workgroup_id_x 1
		.amdhsa_system_sgpr_workgroup_id_y 0
		.amdhsa_system_sgpr_workgroup_id_z 0
		.amdhsa_system_sgpr_workgroup_info 0
		.amdhsa_system_vgpr_workitem_id 0
		.amdhsa_next_free_vgpr 94
		.amdhsa_next_free_sgpr 105
		.amdhsa_named_barrier_count 0
		.amdhsa_reserve_vcc 1
		.amdhsa_float_round_mode_32 0
		.amdhsa_float_round_mode_16_64 0
		.amdhsa_float_denorm_mode_32 3
		.amdhsa_float_denorm_mode_16_64 3
		.amdhsa_fp16_overflow 0
		.amdhsa_memory_ordered 1
		.amdhsa_forward_progress 1
		.amdhsa_inst_pref_size 39
		.amdhsa_round_robin_scheduling 0
		.amdhsa_exception_fp_ieee_invalid_op 0
		.amdhsa_exception_fp_denorm_src 0
		.amdhsa_exception_fp_ieee_div_zero 0
		.amdhsa_exception_fp_ieee_overflow 0
		.amdhsa_exception_fp_ieee_underflow 0
		.amdhsa_exception_fp_ieee_inexact 0
		.amdhsa_exception_int_div_zero 0
	.end_amdhsa_kernel
	.text
.Lfunc_end6:
	.size	_Z12EvaluateNodeiPiS_S_S_S_S_PN2rw3CutES2_S_PNS0_7LibraryEPNS0_9TableNodeEi, .Lfunc_end6-_Z12EvaluateNodeiPiS_S_S_S_S_PN2rw3CutES2_S_PNS0_7LibraryEPNS0_9TableNodeEi
                                        ; -- End function
	.set _Z12EvaluateNodeiPiS_S_S_S_S_PN2rw3CutES2_S_PNS0_7LibraryEPNS0_9TableNodeEi.num_vgpr, max(94, .L_Z8CalcMFFCiPN2rw3CutEPiS2_S2_S2_S2_S2_i.num_vgpr, .L_Z4EvaliPiiPN2rw7LibraryEi.num_vgpr, .L__assert_fail.num_vgpr)
	.set _Z12EvaluateNodeiPiS_S_S_S_S_PN2rw3CutES2_S_PNS0_7LibraryEPNS0_9TableNodeEi.num_agpr, max(0, .L_Z8CalcMFFCiPN2rw3CutEPiS2_S2_S2_S2_S2_i.num_agpr, .L_Z4EvaliPiiPN2rw7LibraryEi.num_agpr, .L__assert_fail.num_agpr)
	.set _Z12EvaluateNodeiPiS_S_S_S_S_PN2rw3CutES2_S_PNS0_7LibraryEPNS0_9TableNodeEi.numbered_sgpr, max(105, .L_Z8CalcMFFCiPN2rw3CutEPiS2_S2_S2_S2_S2_i.numbered_sgpr, .L_Z4EvaliPiiPN2rw7LibraryEi.numbered_sgpr, .L__assert_fail.numbered_sgpr)
	.set _Z12EvaluateNodeiPiS_S_S_S_S_PN2rw3CutES2_S_PNS0_7LibraryEPNS0_9TableNodeEi.num_named_barrier, max(0, .L_Z8CalcMFFCiPN2rw3CutEPiS2_S2_S2_S2_S2_i.num_named_barrier, .L_Z4EvaliPiiPN2rw7LibraryEi.num_named_barrier, .L__assert_fail.num_named_barrier)
	.set _Z12EvaluateNodeiPiS_S_S_S_S_PN2rw3CutES2_S_PNS0_7LibraryEPNS0_9TableNodeEi.private_seg_size, 512+max(.L_Z8CalcMFFCiPN2rw3CutEPiS2_S2_S2_S2_S2_i.private_seg_size, .L_Z4EvaliPiiPN2rw7LibraryEi.private_seg_size, .L__assert_fail.private_seg_size)
	.set _Z12EvaluateNodeiPiS_S_S_S_S_PN2rw3CutES2_S_PNS0_7LibraryEPNS0_9TableNodeEi.uses_vcc, or(1, .L_Z8CalcMFFCiPN2rw3CutEPiS2_S2_S2_S2_S2_i.uses_vcc, .L_Z4EvaliPiiPN2rw7LibraryEi.uses_vcc, .L__assert_fail.uses_vcc)
	.set _Z12EvaluateNodeiPiS_S_S_S_S_PN2rw3CutES2_S_PNS0_7LibraryEPNS0_9TableNodeEi.uses_flat_scratch, or(1, .L_Z8CalcMFFCiPN2rw3CutEPiS2_S2_S2_S2_S2_i.uses_flat_scratch, .L_Z4EvaliPiiPN2rw7LibraryEi.uses_flat_scratch, .L__assert_fail.uses_flat_scratch)
	.set _Z12EvaluateNodeiPiS_S_S_S_S_PN2rw3CutES2_S_PNS0_7LibraryEPNS0_9TableNodeEi.has_dyn_sized_stack, or(0, .L_Z8CalcMFFCiPN2rw3CutEPiS2_S2_S2_S2_S2_i.has_dyn_sized_stack, .L_Z4EvaliPiiPN2rw7LibraryEi.has_dyn_sized_stack, .L__assert_fail.has_dyn_sized_stack)
	.set _Z12EvaluateNodeiPiS_S_S_S_S_PN2rw3CutES2_S_PNS0_7LibraryEPNS0_9TableNodeEi.has_recursion, or(1, .L_Z8CalcMFFCiPN2rw3CutEPiS2_S2_S2_S2_S2_i.has_recursion, .L_Z4EvaliPiiPN2rw7LibraryEi.has_recursion, .L__assert_fail.has_recursion)
	.set _Z12EvaluateNodeiPiS_S_S_S_S_PN2rw3CutES2_S_PNS0_7LibraryEPNS0_9TableNodeEi.has_indirect_call, or(0, .L_Z8CalcMFFCiPN2rw3CutEPiS2_S2_S2_S2_S2_i.has_indirect_call, .L_Z4EvaliPiiPN2rw7LibraryEi.has_indirect_call, .L__assert_fail.has_indirect_call)
	.section	.AMDGPU.csdata,"",@progbits
; Kernel info:
; codeLenInByte = 4904
; TotalNumSgprs: 107
; NumVgprs: 94
; ScratchSize: 608
; MemoryBound: 0
; FloatMode: 240
; IeeeMode: 1
; LDSByteSize: 0 bytes/workgroup (compile time only)
; SGPRBlocks: 0
; VGPRBlocks: 5
; NumSGPRsForWavesPerEU: 107
; NumVGPRsForWavesPerEU: 94
; NamedBarCnt: 0
; Occupancy: 10
; WaveLimiterHint : 1
; COMPUTE_PGM_RSRC2:SCRATCH_EN: 1
; COMPUTE_PGM_RSRC2:USER_SGPR: 2
; COMPUTE_PGM_RSRC2:TRAP_HANDLER: 0
; COMPUTE_PGM_RSRC2:TGID_X_EN: 1
; COMPUTE_PGM_RSRC2:TGID_Y_EN: 0
; COMPUTE_PGM_RSRC2:TGID_Z_EN: 0
; COMPUTE_PGM_RSRC2:TIDIG_COMP_CNT: 0
	.text
	.protected	_Z14BuildHashTablePN2rw9TableNodeEiPiS2_S2_S2_ ; -- Begin function _Z14BuildHashTablePN2rw9TableNodeEiPiS2_S2_S2_
	.globl	_Z14BuildHashTablePN2rw9TableNodeEiPiS2_S2_S2_
	.p2align	8
	.type	_Z14BuildHashTablePN2rw9TableNodeEiPiS2_S2_S2_,@function
_Z14BuildHashTablePN2rw9TableNodeEiPiS2_S2_S2_: ; @_Z14BuildHashTablePN2rw9TableNodeEiPiS2_S2_S2_
; %bb.0:
	s_clause 0x1
	s_load_b32 s2, s[0:1], 0x3c
	s_load_b32 s3, s[0:1], 0x8
	s_bfe_u32 s4, ttmp6, 0x4000c
	s_and_b32 s5, ttmp6, 15
	s_add_co_i32 s4, s4, 1
	s_getreg_b32 s6, hwreg(HW_REG_IB_STS2, 6, 4)
	s_mul_i32 s4, ttmp9, s4
	s_delay_alu instid0(SALU_CYCLE_1) | instskip(SKIP_4) | instid1(SALU_CYCLE_1)
	s_add_co_i32 s5, s5, s4
	s_wait_kmcnt 0x0
	s_and_b32 s2, s2, 0xffff
	s_cmp_eq_u32 s6, 0
	s_cselect_b32 s4, ttmp9, s5
	v_mad_u32 v0, s4, s2, v0
	s_mov_b32 s2, exec_lo
	s_delay_alu instid0(VALU_DEP_1)
	v_cmpx_gt_i32_e64 s3, v0
	s_cbranch_execz .LBB7_8
; %bb.1:
	s_load_b256 s[4:11], s[0:1], 0x10
	s_wait_kmcnt 0x0
	s_clause 0x1
	global_load_b32 v2, v0, s[4:5] offset:4 scale_offset
	global_load_b32 v3, v0, s[6:7] offset:4 scale_offset
	s_wait_loadcnt 0x0
	v_or_b32_e32 v1, v2, v3
	s_delay_alu instid0(VALU_DEP_1)
	v_cmp_ne_u32_e32 vcc_lo, 0, v1
	s_and_b32 exec_lo, exec_lo, vcc_lo
	s_cbranch_execz .LBB7_8
; %bb.2:
	v_mul_lo_u32 v2, 0x1f01, v2
	v_mul_lo_u32 v3, 0xb9b, v3
	v_ashrrev_i32_e32 v1, 31, v0
	s_get_pc_i64 s[4:5]
	s_add_nc_u64 s[4:5], s[4:5], P@rel64+4
	s_delay_alu instid0(VALU_DEP_2) | instskip(NEXT) | instid1(VALU_DEP_2)
	v_xor_b32_e32 v2, v3, v2
	v_lshlrev_b64_e32 v[4:5], 2, v[0:1]
	s_delay_alu instid0(VALU_DEP_1)
	v_add_nc_u64_e32 v[6:7], s[8:9], v[4:5]
	v_add_nc_u64_e32 v[4:5], s[10:11], v[4:5]
	global_load_b32 v1, v[6:7], off offset:4
	global_load_b32 v8, v[4:5], off offset:4
	s_load_b64 s[2:3], s[4:5], 0x0
                                        ; implicit-def: $vgpr6_vgpr7
	s_wait_loadcnt 0x1
	v_mul_lo_u32 v1, 0x38f, v1
	s_wait_kmcnt 0x0
	s_load_b32 s6, s[2:3], 0x0
	s_wait_loadcnt 0x0
	v_mul_lo_u32 v4, 0x161, v8
	s_wait_xcnt 0x0
	s_mov_b32 s2, exec_lo
	s_delay_alu instid0(VALU_DEP_1) | instskip(NEXT) | instid1(VALU_DEP_1)
	v_xor3_b32 v2, v2, v1, v4
	v_dual_mov_b32 v4, 0 :: v_dual_ashrrev_i32 v1, 31, v2
	s_wait_kmcnt 0x0
	s_ashr_i32 s7, s6, 31
	s_delay_alu instid0(VALU_DEP_1) | instid1(SALU_CYCLE_1)
	v_or_b32_e32 v5, s7, v1
	s_delay_alu instid0(VALU_DEP_1)
	v_cmpx_ne_u64_e32 0, v[4:5]
	s_xor_b32 s3, exec_lo, s2
	s_cbranch_execz .LBB7_4
; %bb.3:
	s_cvt_f32_u32 s2, s6
	s_cvt_f32_u32 s8, s7
	s_sub_nc_u64 s[10:11], 0, s[6:7]
	s_mov_b32 s15, 0
	v_dual_mov_b32 v6, v2 :: v_dual_mov_b32 v7, v4
	s_fmamk_f32 s2, s8, 0x4f800000, s2
	v_dual_mov_b32 v8, v1 :: v_dual_mov_b32 v9, v4
	v_dual_mov_b32 v13, v4 :: v_dual_mov_b32 v5, v4
	s_delay_alu instid0(SALU_CYCLE_1) | instskip(NEXT) | instid1(TRANS32_DEP_1)
	v_s_rcp_f32 s2, s2
	s_mul_f32 s2, s2, 0x5f7ffffc
	s_delay_alu instid0(SALU_CYCLE_3) | instskip(NEXT) | instid1(SALU_CYCLE_3)
	s_mul_f32 s8, s2, 0x2f800000
	s_trunc_f32 s8, s8
	s_delay_alu instid0(SALU_CYCLE_3) | instskip(SKIP_1) | instid1(SALU_CYCLE_2)
	s_fmamk_f32 s2, s8, 0xcf800000, s2
	s_cvt_u32_f32 s9, s8
	s_cvt_u32_f32 s8, s2
	s_delay_alu instid0(SALU_CYCLE_3) | instskip(NEXT) | instid1(SALU_CYCLE_1)
	s_mul_u64 s[12:13], s[10:11], s[8:9]
	s_mul_hi_u32 s17, s8, s13
	s_mul_i32 s16, s8, s13
	s_mul_hi_u32 s14, s8, s12
	s_mul_i32 s18, s9, s12
	s_add_nc_u64 s[16:17], s[14:15], s[16:17]
	s_mul_hi_u32 s2, s9, s12
	s_mul_hi_u32 s19, s9, s13
	s_mul_i32 s12, s9, s13
	s_add_co_u32 s13, s16, s18
	s_add_co_ci_u32 s14, s17, s2
	s_add_co_ci_u32 s13, s19, 0
	s_delay_alu instid0(SALU_CYCLE_1) | instskip(NEXT) | instid1(SALU_CYCLE_1)
	s_add_nc_u64 s[12:13], s[14:15], s[12:13]
	s_add_co_u32 s8, s8, s12
	s_cselect_b32 s2, -1, 0
	s_delay_alu instid0(SALU_CYCLE_1) | instskip(SKIP_1) | instid1(SALU_CYCLE_1)
	s_cmp_lg_u32 s2, 0
	s_add_co_ci_u32 s9, s9, s13
	s_mul_u64 s[10:11], s[10:11], s[8:9]
	s_delay_alu instid0(SALU_CYCLE_1)
	s_mul_hi_u32 s13, s8, s11
	s_mul_i32 s12, s8, s11
	s_mul_hi_u32 s14, s8, s10
	s_mul_i32 s16, s9, s10
	s_add_nc_u64 s[12:13], s[14:15], s[12:13]
	s_mul_hi_u32 s2, s9, s10
	s_mul_hi_u32 s17, s9, s11
	s_mul_i32 s10, s9, s11
	s_add_co_u32 s11, s12, s16
	s_add_co_ci_u32 s14, s13, s2
	s_add_co_ci_u32 s11, s17, 0
	s_delay_alu instid0(SALU_CYCLE_1) | instskip(NEXT) | instid1(SALU_CYCLE_1)
	s_add_nc_u64 s[10:11], s[14:15], s[10:11]
	s_add_co_u32 s2, s8, s10
	s_cselect_b32 s8, -1, 0
	v_nop
	v_mul_hi_u32 v12, v2, s2
	s_cmp_lg_u32 s8, 0
	s_add_co_ci_u32 s14, s9, s11
	s_mov_b64 s[8:9], 0xffffffff
	v_mul_u64_e32 v[6:7], s[14:15], v[6:7]
	s_and_b64 s[8:9], s[2:3], s[8:9]
	s_delay_alu instid0(SALU_CYCLE_1) | instskip(SKIP_1) | instid1(VALU_DEP_3)
	v_mul_u64_e32 v[10:11], s[8:9], v[8:9]
	v_mul_u64_e32 v[8:9], s[14:15], v[8:9]
	v_add_nc_u64_e32 v[6:7], v[12:13], v[6:7]
	s_delay_alu instid0(VALU_DEP_1) | instskip(NEXT) | instid1(VALU_DEP_2)
	v_add_co_u32 v3, vcc_lo, v6, v10
	v_add_co_ci_u32_e32 v4, vcc_lo, v7, v11, vcc_lo
	s_delay_alu instid0(VALU_DEP_4) | instskip(NEXT) | instid1(VALU_DEP_1)
	v_add_co_ci_u32_e32 v9, vcc_lo, 0, v9, vcc_lo
	v_add_nc_u64_e32 v[4:5], v[4:5], v[8:9]
	s_delay_alu instid0(VALU_DEP_1) | instskip(NEXT) | instid1(VALU_DEP_1)
	v_mul_u64_e32 v[4:5], s[6:7], v[4:5]
	v_sub_nc_u32_e32 v3, v1, v5
	s_delay_alu instid0(VALU_DEP_2) | instskip(NEXT) | instid1(VALU_DEP_1)
	v_sub_co_u32 v2, vcc_lo, v2, v4
	v_sub_co_ci_u32_e64 v1, null, v1, v5, vcc_lo
	s_delay_alu instid0(VALU_DEP_3) | instskip(NEXT) | instid1(VALU_DEP_3)
	v_subrev_co_ci_u32_e64 v3, null, s7, v3, vcc_lo
	v_sub_co_u32 v4, vcc_lo, v2, s6
	v_cmp_le_u32_e64 s2, s6, v2
	s_delay_alu instid0(VALU_DEP_3) | instskip(SKIP_1) | instid1(VALU_DEP_3)
	v_subrev_co_ci_u32_e64 v5, null, 0, v3, vcc_lo
	v_subrev_co_ci_u32_e64 v3, null, s7, v3, vcc_lo
	v_cndmask_b32_e64 v6, 0, -1, s2
	v_cmp_le_u32_e64 s2, s6, v4
	v_cmp_le_u32_e32 vcc_lo, s7, v1
	s_delay_alu instid0(VALU_DEP_2) | instskip(SKIP_3) | instid1(VALU_DEP_3)
	v_cndmask_b32_e64 v7, 0, -1, s2
	v_cmp_le_u32_e64 s2, s7, v5
	v_cndmask_b32_e64 v9, 0, -1, vcc_lo
	v_cmp_eq_u32_e32 vcc_lo, s7, v5
	v_cndmask_b32_e64 v8, 0, -1, s2
	v_cmp_eq_u32_e64 s2, s7, v1
	s_delay_alu instid0(VALU_DEP_2) | instskip(SKIP_1) | instid1(VALU_DEP_1)
	v_cndmask_b32_e32 v7, v8, v7, vcc_lo
	v_sub_co_u32 v8, vcc_lo, v4, s6
	v_subrev_co_ci_u32_e64 v3, null, 0, v3, vcc_lo
	s_delay_alu instid0(VALU_DEP_3) | instskip(NEXT) | instid1(VALU_DEP_3)
	v_cmp_ne_u32_e32 vcc_lo, 0, v7
	v_dual_cndmask_b32 v6, v9, v6, s2 :: v_dual_cndmask_b32 v4, v4, v8, vcc_lo
	s_delay_alu instid0(VALU_DEP_3) | instskip(NEXT) | instid1(VALU_DEP_2)
	v_cndmask_b32_e32 v3, v5, v3, vcc_lo
	v_cmp_ne_u32_e32 vcc_lo, 0, v6
	s_delay_alu instid0(VALU_DEP_2)
	v_dual_cndmask_b32 v6, v2, v4 :: v_dual_cndmask_b32 v7, v1, v3
                                        ; implicit-def: $vgpr2_vgpr3
.LBB7_4:
	s_and_not1_saveexec_b32 s2, s3
	s_cbranch_execz .LBB7_6
; %bb.5:
	v_cvt_f32_u32_e32 v1, s6
	s_sub_co_i32 s3, 0, s6
	v_mov_b32_e32 v7, 0
	s_delay_alu instid0(VALU_DEP_2) | instskip(SKIP_1) | instid1(TRANS32_DEP_1)
	v_rcp_iflag_f32_e32 v1, v1
	v_nop
	v_mul_f32_e32 v1, 0x4f7ffffe, v1
	s_delay_alu instid0(VALU_DEP_1) | instskip(NEXT) | instid1(VALU_DEP_1)
	v_cvt_u32_f32_e32 v1, v1
	v_mul_lo_u32 v3, s3, v1
	s_delay_alu instid0(VALU_DEP_1) | instskip(NEXT) | instid1(VALU_DEP_1)
	v_mul_hi_u32 v3, v1, v3
	v_add_nc_u32_e32 v1, v1, v3
	s_delay_alu instid0(VALU_DEP_1) | instskip(NEXT) | instid1(VALU_DEP_1)
	v_mul_hi_u32 v1, v2, v1
	v_mul_lo_u32 v1, v1, s6
	s_delay_alu instid0(VALU_DEP_1) | instskip(NEXT) | instid1(VALU_DEP_1)
	v_sub_nc_u32_e32 v1, v2, v1
	v_subrev_nc_u32_e32 v2, s6, v1
	v_cmp_le_u32_e32 vcc_lo, s6, v1
	s_delay_alu instid0(VALU_DEP_2) | instskip(NEXT) | instid1(VALU_DEP_1)
	v_cndmask_b32_e32 v1, v1, v2, vcc_lo
	v_subrev_nc_u32_e32 v2, s6, v1
	v_cmp_le_u32_e32 vcc_lo, s6, v1
	s_delay_alu instid0(VALU_DEP_2)
	v_cndmask_b32_e32 v6, v1, v2, vcc_lo
.LBB7_6:
	s_or_b32 exec_lo, exec_lo, s2
	s_load_b64 s[0:1], s[0:1], 0x0
	v_dual_add_nc_u32 v2, s6, v0 :: v_dual_add_nc_u32 v8, 1, v0
	s_mov_b32 s2, 0
	s_delay_alu instid0(VALU_DEP_1) | instskip(SKIP_1) | instid1(VALU_DEP_1)
	v_dual_mov_b32 v1, 0 :: v_dual_ashrrev_i32 v3, 31, v2
	s_wait_kmcnt 0x0
	v_lshl_add_u64 v[4:5], v[2:3], 3, s[0:1]
	v_mov_b32_e32 v3, -1
	global_store_b32 v[4:5], v8, off
.LBB7_7:                                ; =>This Inner Loop Header: Depth=1
	global_load_b64 v[4:5], v1, s[4:5]
	s_wait_loadcnt 0x0
	global_load_b32 v2, v[4:5], off
	s_wait_xcnt 0x0
	v_lshl_add_u64 v[4:5], v[6:7], 3, s[0:1]
	s_wait_loadcnt 0x0
	v_add_nc_u32_e32 v2, v2, v0
	global_atomic_cmpswap_b32 v6, v[4:5], v[2:3], off offset:4 th:TH_ATOMIC_RETURN scope:SCOPE_DEV
	s_wait_loadcnt 0x0
	v_cmp_eq_u32_e32 vcc_lo, -1, v6
	v_ashrrev_i32_e32 v7, 31, v6
	s_or_b32 s2, vcc_lo, s2
	s_wait_xcnt 0x0
	s_and_not1_b32 exec_lo, exec_lo, s2
	s_cbranch_execnz .LBB7_7
.LBB7_8:
	s_endpgm
	.section	.rodata,"a",@progbits
	.p2align	6, 0x0
	.amdhsa_kernel _Z14BuildHashTablePN2rw9TableNodeEiPiS2_S2_S2_
		.amdhsa_group_segment_fixed_size 0
		.amdhsa_private_segment_fixed_size 0
		.amdhsa_kernarg_size 304
		.amdhsa_user_sgpr_count 2
		.amdhsa_user_sgpr_dispatch_ptr 0
		.amdhsa_user_sgpr_queue_ptr 0
		.amdhsa_user_sgpr_kernarg_segment_ptr 1
		.amdhsa_user_sgpr_dispatch_id 0
		.amdhsa_user_sgpr_kernarg_preload_length 0
		.amdhsa_user_sgpr_kernarg_preload_offset 0
		.amdhsa_user_sgpr_private_segment_size 0
		.amdhsa_wavefront_size32 1
		.amdhsa_uses_dynamic_stack 0
		.amdhsa_enable_private_segment 0
		.amdhsa_system_sgpr_workgroup_id_x 1
		.amdhsa_system_sgpr_workgroup_id_y 0
		.amdhsa_system_sgpr_workgroup_id_z 0
		.amdhsa_system_sgpr_workgroup_info 0
		.amdhsa_system_vgpr_workitem_id 0
		.amdhsa_next_free_vgpr 14
		.amdhsa_next_free_sgpr 20
		.amdhsa_named_barrier_count 0
		.amdhsa_reserve_vcc 1
		.amdhsa_float_round_mode_32 0
		.amdhsa_float_round_mode_16_64 0
		.amdhsa_float_denorm_mode_32 3
		.amdhsa_float_denorm_mode_16_64 3
		.amdhsa_fp16_overflow 0
		.amdhsa_memory_ordered 1
		.amdhsa_forward_progress 1
		.amdhsa_inst_pref_size 10
		.amdhsa_round_robin_scheduling 0
		.amdhsa_exception_fp_ieee_invalid_op 0
		.amdhsa_exception_fp_denorm_src 0
		.amdhsa_exception_fp_ieee_div_zero 0
		.amdhsa_exception_fp_ieee_overflow 0
		.amdhsa_exception_fp_ieee_underflow 0
		.amdhsa_exception_fp_ieee_inexact 0
		.amdhsa_exception_int_div_zero 0
	.end_amdhsa_kernel
	.text
.Lfunc_end7:
	.size	_Z14BuildHashTablePN2rw9TableNodeEiPiS2_S2_S2_, .Lfunc_end7-_Z14BuildHashTablePN2rw9TableNodeEiPiS2_S2_S2_
                                        ; -- End function
	.set _Z14BuildHashTablePN2rw9TableNodeEiPiS2_S2_S2_.num_vgpr, 14
	.set _Z14BuildHashTablePN2rw9TableNodeEiPiS2_S2_S2_.num_agpr, 0
	.set _Z14BuildHashTablePN2rw9TableNodeEiPiS2_S2_S2_.numbered_sgpr, 20
	.set _Z14BuildHashTablePN2rw9TableNodeEiPiS2_S2_S2_.num_named_barrier, 0
	.set _Z14BuildHashTablePN2rw9TableNodeEiPiS2_S2_S2_.private_seg_size, 0
	.set _Z14BuildHashTablePN2rw9TableNodeEiPiS2_S2_S2_.uses_vcc, 1
	.set _Z14BuildHashTablePN2rw9TableNodeEiPiS2_S2_S2_.uses_flat_scratch, 0
	.set _Z14BuildHashTablePN2rw9TableNodeEiPiS2_S2_S2_.has_dyn_sized_stack, 0
	.set _Z14BuildHashTablePN2rw9TableNodeEiPiS2_S2_S2_.has_recursion, 0
	.set _Z14BuildHashTablePN2rw9TableNodeEiPiS2_S2_S2_.has_indirect_call, 0
	.section	.AMDGPU.csdata,"",@progbits
; Kernel info:
; codeLenInByte = 1216
; TotalNumSgprs: 22
; NumVgprs: 14
; ScratchSize: 0
; MemoryBound: 0
; FloatMode: 240
; IeeeMode: 1
; LDSByteSize: 0 bytes/workgroup (compile time only)
; SGPRBlocks: 0
; VGPRBlocks: 0
; NumSGPRsForWavesPerEU: 22
; NumVGPRsForWavesPerEU: 14
; NamedBarCnt: 0
; Occupancy: 16
; WaveLimiterHint : 1
; COMPUTE_PGM_RSRC2:SCRATCH_EN: 0
; COMPUTE_PGM_RSRC2:USER_SGPR: 2
; COMPUTE_PGM_RSRC2:TRAP_HANDLER: 0
; COMPUTE_PGM_RSRC2:TGID_X_EN: 1
; COMPUTE_PGM_RSRC2:TGID_Y_EN: 0
; COMPUTE_PGM_RSRC2:TGID_Z_EN: 0
; COMPUTE_PGM_RSRC2:TIDIG_COMP_CNT: 0
	.text
	.p2align	2                               ; -- Begin function _Z10BuildSubgriiPN2rw7LibraryEPimS2_S2_S2_S2_S2_PNS_9TableNodeEi
	.type	_Z10BuildSubgriiPN2rw7LibraryEPimS2_S2_S2_S2_S2_PNS_9TableNodeEi,@function
_Z10BuildSubgriiPN2rw7LibraryEPimS2_S2_S2_S2_S2_PNS_9TableNodeEi: ; @_Z10BuildSubgriiPN2rw7LibraryEPimS2_S2_S2_S2_S2_PNS_9TableNodeEi
; %bb.0:
	s_wait_loadcnt_dscnt 0x0
	s_wait_kmcnt 0x0
	s_mov_b32 s0, s33
	s_mov_b32 s33, s32
	s_or_saveexec_b32 s1, -1
	scratch_store_b32 off, v79, s33 offset:108 ; 4-byte Folded Spill
	s_wait_xcnt 0x0
	s_mov_b32 exec_lo, s1
	v_writelane_b32 v79, s0, 5
	s_addk_co_i32 s32, 0x80
	s_clause 0x1a
	scratch_store_b32 off, v40, s33 offset:104
	; meta instruction
	scratch_store_b32 off, v41, s33 offset:100
	; meta instruction
	;; [unrolled: 2-line block ×26, first 2 shown]
	scratch_store_b32 off, v91, s33
	v_writelane_b32 v79, s34, 0
	v_writelane_b32 v79, s36, 1
	;; [unrolled: 1-line block ×5, first 2 shown]
	s_wait_xcnt 0x4
	v_dual_mov_b32 v78, v20 :: v_dual_mov_b32 v61, v5
	v_dual_mov_b32 v60, v4 :: v_dual_mov_b32 v41, v19
	;; [unrolled: 1-line block ×3, first 2 shown]
	v_dual_mov_b32 v40, v18 :: v_dual_ashrrev_i32 v1, 31, v0
	v_dual_mov_b32 v59, v17 :: v_dual_mov_b32 v58, v16
	v_mov_b32_e32 v43, v15
	s_wait_xcnt 0x2
	s_delay_alu instid0(VALU_DEP_3)
	v_lshl_add_u64 v[88:89], v[0:1], 2, v[60:61]
	v_dual_mov_b32 v42, v14 :: v_dual_mov_b32 v45, v13
	v_dual_mov_b32 v44, v12 :: v_dual_mov_b32 v47, v11
	flat_load_b32 v2, v[88:89]
	v_dual_mov_b32 v46, v10 :: v_dual_mov_b32 v57, v9
	v_dual_mov_b32 v56, v8 :: v_dual_mov_b32 v63, v7
	;; [unrolled: 1-line block ×3, first 2 shown]
	s_mov_b32 s34, exec_lo
	s_wait_loadcnt_dscnt 0x0
	v_cmpx_eq_u32_e32 -1, v2
	s_cbranch_execz .LBB8_34
; %bb.1:
	v_mad_nc_i64_i32 v[2:3], 0xf0, v73, v[76:77]
	v_dual_mov_b32 v5, v61 :: v_dual_mov_b32 v6, v62
	v_dual_mov_b32 v7, v63 :: v_dual_mov_b32 v8, v56
	;; [unrolled: 1-line block ×5, first 2 shown]
	v_lshl_add_u64 v[90:91], v[0:1], 2, v[2:3]
	v_dual_mov_b32 v1, v73 :: v_dual_mov_b32 v2, v76
	v_dual_mov_b32 v3, v77 :: v_dual_mov_b32 v4, v60
	s_clause 0x1
	flat_load_b32 v74, v[90:91] offset:806336
	flat_load_b32 v72, v[90:91] offset:859616
	v_dual_mov_b32 v15, v43 :: v_dual_mov_b32 v16, v58
	v_dual_mov_b32 v17, v59 :: v_dual_mov_b32 v18, v40
	;; [unrolled: 1-line block ×3, first 2 shown]
	s_get_pc_i64 s[36:37]
	s_add_nc_u64 s[36:37], s[36:37], _Z10BuildSubgriiPN2rw7LibraryEPimS2_S2_S2_S2_S2_PNS_9TableNodeEi@rel64+4
	s_wait_loadcnt_dscnt 0x101
	v_mov_b32_e32 v0, v74
	s_swap_pc_i64 s[30:31], s[36:37]
	v_dual_mov_b32 v0, v72 :: v_dual_mov_b32 v1, v73
	v_dual_mov_b32 v2, v76 :: v_dual_mov_b32 v3, v77
	;; [unrolled: 1-line block ×10, first 2 shown]
	v_mov_b32_e32 v20, v78
	s_swap_pc_i64 s[30:31], s[36:37]
	s_mov_b32 s0, exec_lo
	s_mov_b32 s1, exec_lo
	v_mbcnt_lo_u32_b32 v0, s0, 0
                                        ; implicit-def: $vgpr1
	s_wait_xcnt 0x0
	s_delay_alu instid0(VALU_DEP_1)
	v_cmpx_eq_u32_e32 0, v0
	s_cbranch_execz .LBB8_3
; %bb.2:
	v_mov_b32_e32 v1, 0
	s_get_pc_i64 s[2:3]
	s_add_nc_u64 s[2:3], s[2:3], N@rel64+4
	s_bcnt1_i32_b32 s0, s0
	global_load_b64 v[2:3], v1, s[2:3]
	s_wait_xcnt 0x0
	v_mov_b32_e32 v1, s0
	s_wait_loadcnt 0x0
	global_atomic_add_u32 v1, v[2:3], v1, off th:TH_ATOMIC_RETURN scope:SCOPE_DEV
.LBB8_3:
	s_wait_xcnt 0x0
	s_or_b32 exec_lo, exec_lo, s1
	s_wait_loadcnt 0x0
	v_readfirstlane_b32 s0, v1
	v_dual_ashrrev_i32 v75, 31, v74 :: v_dual_ashrrev_i32 v73, 31, v72
	v_lshrrev_b64 v[6:7], v74, v[62:63]
	v_lshrrev_b64 v[12:13], v72, v[62:63]
	s_delay_alu instid0(VALU_DEP_4) | instskip(NEXT) | instid1(VALU_DEP_4)
	v_add_nc_u32_e32 v8, s0, v0
	v_lshl_add_u64 v[2:3], v[74:75], 2, v[60:61]
	s_mov_b32 s0, exec_lo
	s_delay_alu instid0(VALU_DEP_2) | instskip(SKIP_4) | instid1(VALU_DEP_1)
	v_ashrrev_i32_e32 v9, 31, v8
	flat_load_b32 v4, v[2:3]
	s_wait_xcnt 0x0
	v_lshl_add_u64 v[2:3], v[72:73], 2, v[60:61]
	v_lshlrev_b64_e32 v[10:11], 2, v[8:9]
	v_add_nc_u64_e32 v[0:1], v[56:57], v[10:11]
	s_wait_loadcnt_dscnt 0x0
	flat_store_b32 v[0:1], v4 offset:4
	flat_load_b32 v4, v[2:3]
	s_wait_xcnt 0x0
	v_add_nc_u64_e32 v[2:3], v[46:47], v[10:11]
	s_wait_loadcnt_dscnt 0x0
	flat_store_b32 v[2:3], v4 offset:4
	flat_load_b32 v9, v[90:91] offset:912896
	s_wait_xcnt 0x1
	v_add_nc_u64_e32 v[4:5], v[44:45], v[10:11]
	s_wait_loadcnt_dscnt 0x0
	v_bitop3_b32 v6, v9, v6, 1 bitop3:0x78
	flat_store_b32 v[4:5], v6 offset:4
	flat_load_b32 v9, v[90:91] offset:966176
	s_wait_xcnt 0x1
	v_add_nc_u64_e32 v[6:7], v[42:43], v[10:11]
	v_add_nc_u64_e32 v[10:11], v[58:59], v[10:11]
	s_wait_loadcnt_dscnt 0x0
	v_bitop3_b32 v9, v9, v12, 1 bitop3:0x78
	flat_store_b32 v[6:7], v9 offset:4
	flat_load_b32 v12, v[0:1] offset:4
	flat_load_b32 v14, v[2:3] offset:4
	flat_load_b32 v16, v[4:5] offset:4
	s_wait_loadcnt_dscnt 0x101
	v_dual_ashrrev_i32 v13, 31, v12 :: v_dual_ashrrev_i32 v15, 31, v14
	s_delay_alu instid0(VALU_DEP_1) | instskip(NEXT) | instid1(VALU_DEP_2)
	v_lshl_add_u64 v[12:13], v[12:13], 2, v[58:59]
	v_lshl_add_u64 v[14:15], v[14:15], 2, v[58:59]
	s_clause 0x1
	flat_load_b32 v17, v[12:13]
	flat_load_b32 v18, v[14:15]
	s_wait_loadcnt_dscnt 0x101
	s_wait_xcnt 0x1
	v_xor_b32_e32 v12, v16, v17
	s_wait_loadcnt_dscnt 0x0
	s_delay_alu instid0(VALU_DEP_1)
	v_bitop3_b32 v9, v18, v12, v9 bitop3:0x48
	flat_store_b32 v[10:11], v9 offset:4
	flat_load_b32 v9, v[0:1] offset:4
	flat_load_b32 v11, v[2:3] offset:4
                                        ; implicit-def: $vgpr10
	s_wait_loadcnt_dscnt 0x0
	v_cmpx_le_i32_e64 v9, v11
	s_xor_b32 s0, exec_lo, s0
	s_cbranch_execz .LBB8_5
; %bb.4:
	flat_load_b32 v10, v[6:7] offset:4
.LBB8_5:
	s_wait_xcnt 0x0
	s_and_not1_saveexec_b32 s0, s0
	s_cbranch_execz .LBB8_7
; %bb.6:
	flat_store_b32 v[0:1], v11 offset:4
	flat_store_b32 v[2:3], v9 offset:4
	flat_load_b32 v9, v[6:7] offset:4
	s_wait_loadcnt_dscnt 0x103
	flat_load_b32 v10, v[4:5] offset:4
	s_wait_loadcnt_dscnt 0x101
	flat_store_b32 v[4:5], v9 offset:4
	s_wait_loadcnt_dscnt 0x1
	flat_store_b32 v[6:7], v10 offset:4
	flat_load_b32 v9, v[0:1] offset:4
	flat_load_b32 v11, v[2:3] offset:4
.LBB8_7:
	s_wait_xcnt 0x0
	s_or_b32 exec_lo, exec_lo, s0
	s_wait_loadcnt_dscnt 0x101
	v_mul_lo_u32 v9, 0x1f01, v9
	s_wait_loadcnt_dscnt 0x0
	v_mul_lo_u32 v11, 0xb9b, v11
	v_mov_b32_e32 v12, 0
	s_get_pc_i64 s[2:3]
	s_add_nc_u64 s[2:3], s[2:3], P@rel64+4
	v_mul_lo_u32 v10, 0x161, v10
	s_mov_b32 s0, exec_lo
	s_delay_alu instid0(VALU_DEP_3)
	v_xor_b32_e32 v9, v11, v9
	global_load_b64 v[14:15], v12, s[2:3]
	flat_load_b32 v13, v[4:5] offset:4
	s_wait_loadcnt 0x1
	global_load_b32 v14, v[14:15], off
	s_wait_loadcnt_dscnt 0x100
	v_mul_lo_u32 v13, 0x38f, v13
	s_delay_alu instid0(VALU_DEP_1) | instskip(NEXT) | instid1(VALU_DEP_1)
	v_xor3_b32 v10, v9, v13, v10
	v_ashrrev_i32_e32 v9, 31, v10
	s_wait_loadcnt 0x0
	v_readfirstlane_b32 s4, v14
                                        ; implicit-def: $vgpr14_vgpr15
	s_ashr_i32 s5, s4, 31
	s_delay_alu instid0(SALU_CYCLE_1) | instskip(SKIP_1) | instid1(VALU_DEP_1)
	v_or_b32_e32 v13, s5, v9
	s_wait_xcnt 0x0
	v_cmpx_ne_u64_e32 0, v[12:13]
	s_xor_b32 s1, exec_lo, s0
	s_cbranch_execz .LBB8_9
; %bb.8:
	s_cvt_f32_u32 s0, s4
	s_cvt_f32_u32 s6, s5
	s_sub_nc_u64 s[8:9], 0, s[4:5]
	s_mov_b32 s13, 0
	v_dual_mov_b32 v14, v10 :: v_dual_mov_b32 v15, v12
	s_fmamk_f32 s0, s6, 0x4f800000, s0
	v_dual_mov_b32 v16, v9 :: v_dual_mov_b32 v17, v12
	v_dual_mov_b32 v21, v12 :: v_dual_mov_b32 v13, v12
	s_delay_alu instid0(SALU_CYCLE_1) | instskip(NEXT) | instid1(TRANS32_DEP_1)
	v_s_rcp_f32 s0, s0
	s_mul_f32 s0, s0, 0x5f7ffffc
	s_delay_alu instid0(SALU_CYCLE_3) | instskip(NEXT) | instid1(SALU_CYCLE_3)
	s_mul_f32 s6, s0, 0x2f800000
	s_trunc_f32 s6, s6
	s_delay_alu instid0(SALU_CYCLE_3) | instskip(SKIP_1) | instid1(SALU_CYCLE_2)
	s_fmamk_f32 s0, s6, 0xcf800000, s0
	s_cvt_u32_f32 s7, s6
	s_cvt_u32_f32 s6, s0
	s_delay_alu instid0(SALU_CYCLE_3) | instskip(NEXT) | instid1(SALU_CYCLE_1)
	s_mul_u64 s[10:11], s[8:9], s[6:7]
	s_mul_hi_u32 s15, s6, s11
	s_mul_i32 s14, s6, s11
	s_mul_hi_u32 s12, s6, s10
	s_mul_i32 s16, s7, s10
	s_add_nc_u64 s[14:15], s[12:13], s[14:15]
	s_mul_hi_u32 s0, s7, s10
	s_mul_hi_u32 s17, s7, s11
	s_mul_i32 s10, s7, s11
	s_add_co_u32 s11, s14, s16
	s_add_co_ci_u32 s12, s15, s0
	s_add_co_ci_u32 s11, s17, 0
	s_delay_alu instid0(SALU_CYCLE_1) | instskip(NEXT) | instid1(SALU_CYCLE_1)
	s_add_nc_u64 s[10:11], s[12:13], s[10:11]
	s_add_co_u32 s6, s6, s10
	s_cselect_b32 s0, -1, 0
	s_delay_alu instid0(SALU_CYCLE_1) | instskip(SKIP_1) | instid1(SALU_CYCLE_1)
	s_cmp_lg_u32 s0, 0
	s_add_co_ci_u32 s7, s7, s11
	s_mul_u64 s[8:9], s[8:9], s[6:7]
	s_delay_alu instid0(SALU_CYCLE_1)
	s_mul_hi_u32 s11, s6, s9
	s_mul_i32 s10, s6, s9
	s_mul_hi_u32 s12, s6, s8
	s_mul_i32 s14, s7, s8
	s_add_nc_u64 s[10:11], s[12:13], s[10:11]
	s_mul_hi_u32 s0, s7, s8
	s_mul_hi_u32 s15, s7, s9
	s_mul_i32 s8, s7, s9
	s_add_co_u32 s9, s10, s14
	s_add_co_ci_u32 s12, s11, s0
	s_add_co_ci_u32 s9, s15, 0
	s_delay_alu instid0(SALU_CYCLE_1) | instskip(NEXT) | instid1(SALU_CYCLE_1)
	s_add_nc_u64 s[8:9], s[12:13], s[8:9]
	s_add_co_u32 s0, s6, s8
	s_cselect_b32 s6, -1, 0
	v_nop
	v_mul_hi_u32 v20, v10, s0
	s_cmp_lg_u32 s6, 0
	s_add_co_ci_u32 s12, s7, s9
	s_mov_b64 s[6:7], 0xffffffff
	v_mul_u64_e32 v[14:15], s[12:13], v[14:15]
	s_and_b64 s[6:7], s[0:1], s[6:7]
	s_delay_alu instid0(SALU_CYCLE_1) | instskip(SKIP_1) | instid1(VALU_DEP_3)
	v_mul_u64_e32 v[18:19], s[6:7], v[16:17]
	v_mul_u64_e32 v[16:17], s[12:13], v[16:17]
	v_add_nc_u64_e32 v[14:15], v[20:21], v[14:15]
	s_delay_alu instid0(VALU_DEP_1) | instskip(NEXT) | instid1(VALU_DEP_2)
	v_add_co_u32 v11, vcc_lo, v14, v18
	v_add_co_ci_u32_e32 v12, vcc_lo, v15, v19, vcc_lo
	s_delay_alu instid0(VALU_DEP_4) | instskip(NEXT) | instid1(VALU_DEP_1)
	v_add_co_ci_u32_e32 v17, vcc_lo, 0, v17, vcc_lo
	v_add_nc_u64_e32 v[12:13], v[12:13], v[16:17]
	s_delay_alu instid0(VALU_DEP_1) | instskip(NEXT) | instid1(VALU_DEP_1)
	v_mul_u64_e32 v[12:13], s[4:5], v[12:13]
	v_sub_nc_u32_e32 v11, v9, v13
	s_delay_alu instid0(VALU_DEP_2) | instskip(NEXT) | instid1(VALU_DEP_1)
	v_sub_co_u32 v10, vcc_lo, v10, v12
	v_sub_co_ci_u32_e64 v9, null, v9, v13, vcc_lo
	s_delay_alu instid0(VALU_DEP_3) | instskip(NEXT) | instid1(VALU_DEP_3)
	v_subrev_co_ci_u32_e64 v11, null, s5, v11, vcc_lo
	v_sub_co_u32 v12, vcc_lo, v10, s4
	v_cmp_le_u32_e64 s0, s4, v10
	s_delay_alu instid0(VALU_DEP_3) | instskip(SKIP_1) | instid1(VALU_DEP_3)
	v_subrev_co_ci_u32_e64 v13, null, 0, v11, vcc_lo
	v_subrev_co_ci_u32_e64 v11, null, s5, v11, vcc_lo
	v_cndmask_b32_e64 v14, 0, -1, s0
	v_cmp_le_u32_e64 s0, s4, v12
	v_cmp_le_u32_e32 vcc_lo, s5, v9
	s_delay_alu instid0(VALU_DEP_2) | instskip(SKIP_3) | instid1(VALU_DEP_3)
	v_cndmask_b32_e64 v15, 0, -1, s0
	v_cmp_le_u32_e64 s0, s5, v13
	v_cndmask_b32_e64 v17, 0, -1, vcc_lo
	v_cmp_eq_u32_e32 vcc_lo, s5, v13
	v_cndmask_b32_e64 v16, 0, -1, s0
	v_cmp_eq_u32_e64 s0, s5, v9
	s_delay_alu instid0(VALU_DEP_2) | instskip(SKIP_1) | instid1(VALU_DEP_1)
	v_cndmask_b32_e32 v15, v16, v15, vcc_lo
	v_sub_co_u32 v16, vcc_lo, v12, s4
	v_subrev_co_ci_u32_e64 v11, null, 0, v11, vcc_lo
	s_delay_alu instid0(VALU_DEP_3) | instskip(NEXT) | instid1(VALU_DEP_3)
	v_cmp_ne_u32_e32 vcc_lo, 0, v15
	v_dual_cndmask_b32 v14, v17, v14, s0 :: v_dual_cndmask_b32 v12, v12, v16, vcc_lo
	s_delay_alu instid0(VALU_DEP_3) | instskip(NEXT) | instid1(VALU_DEP_2)
	v_cndmask_b32_e32 v11, v13, v11, vcc_lo
	v_cmp_ne_u32_e32 vcc_lo, 0, v14
	s_delay_alu instid0(VALU_DEP_2)
	v_dual_cndmask_b32 v14, v10, v12 :: v_dual_cndmask_b32 v15, v9, v11
                                        ; implicit-def: $vgpr10_vgpr11
.LBB8_9:
	s_and_not1_saveexec_b32 s0, s1
	s_cbranch_execz .LBB8_11
; %bb.10:
	v_cvt_f32_u32_e32 v9, s4
	s_sub_co_i32 s1, 0, s4
	v_mov_b32_e32 v15, 0
	s_delay_alu instid0(VALU_DEP_2) | instskip(SKIP_1) | instid1(TRANS32_DEP_1)
	v_rcp_iflag_f32_e32 v9, v9
	v_nop
	v_mul_f32_e32 v9, 0x4f7ffffe, v9
	s_delay_alu instid0(VALU_DEP_1) | instskip(NEXT) | instid1(VALU_DEP_1)
	v_cvt_u32_f32_e32 v9, v9
	v_mul_lo_u32 v11, s1, v9
	s_delay_alu instid0(VALU_DEP_1) | instskip(NEXT) | instid1(VALU_DEP_1)
	v_mul_hi_u32 v11, v9, v11
	v_add_nc_u32_e32 v9, v9, v11
	s_delay_alu instid0(VALU_DEP_1) | instskip(NEXT) | instid1(VALU_DEP_1)
	v_mul_hi_u32 v9, v10, v9
	v_mul_lo_u32 v9, v9, s4
	s_delay_alu instid0(VALU_DEP_1) | instskip(NEXT) | instid1(VALU_DEP_1)
	v_sub_nc_u32_e32 v9, v10, v9
	v_subrev_nc_u32_e32 v10, s4, v9
	v_cmp_le_u32_e32 vcc_lo, s4, v9
	s_delay_alu instid0(VALU_DEP_2) | instskip(NEXT) | instid1(VALU_DEP_1)
	v_cndmask_b32_e32 v9, v9, v10, vcc_lo
	v_subrev_nc_u32_e32 v10, s4, v9
	v_cmp_le_u32_e32 vcc_lo, s4, v9
	s_delay_alu instid0(VALU_DEP_2)
	v_cndmask_b32_e32 v14, v9, v10, vcc_lo
.LBB8_11:
	s_or_b32 exec_lo, exec_lo, s0
	v_sub_nc_u32_e32 v11, v8, v78
	s_mov_b32 s0, 0
	v_dual_mov_b32 v9, -1 :: v_dual_add_nc_u32 v10, 1, v8
	s_delay_alu instid0(VALU_DEP_2) | instskip(NEXT) | instid1(VALU_DEP_1)
	v_add_nc_u32_e32 v12, s4, v11
	v_ashrrev_i32_e32 v13, 31, v12
	s_delay_alu instid0(VALU_DEP_1)
	v_lshl_add_u64 v[16:17], v[12:13], 3, v[40:41]
	v_mov_b32_e32 v12, 0
	flat_store_b32 v[16:17], v10
.LBB8_12:                               ; =>This Inner Loop Header: Depth=1
	global_load_b64 v[16:17], v12, s[2:3]
	v_lshl_add_u64 v[14:15], v[14:15], 3, v[40:41]
	s_wait_loadcnt 0x0
	global_load_b32 v8, v[16:17], off
	s_wait_loadcnt 0x0
	v_add_nc_u32_e32 v8, v8, v11
	s_wait_xcnt 0x0
	flat_atomic_cmpswap_b32 v14, v[14:15], v[8:9] offset:4 th:TH_ATOMIC_RETURN scope:SCOPE_DEV
	s_wait_loadcnt_dscnt 0x0
	v_cmp_eq_u32_e32 vcc_lo, -1, v14
	s_wait_xcnt 0x0
	v_ashrrev_i32_e32 v15, 31, v14
	s_or_b32 s0, vcc_lo, s0
	s_delay_alu instid0(SALU_CYCLE_1)
	s_and_not1_b32 exec_lo, exec_lo, s0
	s_cbranch_execnz .LBB8_12
; %bb.13:
	s_or_b32 exec_lo, exec_lo, s0
	flat_load_b32 v11, v[0:1] offset:4
	flat_load_b32 v8, v[2:3] offset:4
	;; [unrolled: 1-line block ×4, first 2 shown]
	s_mov_b32 s0, exec_lo
	s_wait_loadcnt_dscnt 0x101
	v_dual_mov_b32 v14, v8 :: v_dual_mov_b32 v13, v9
	s_wait_xcnt 0x0
	v_cmpx_gt_i32_e64 v11, v8
	s_cbranch_execz .LBB8_15
; %bb.14:
	s_wait_loadcnt_dscnt 0x0
	v_dual_mov_b32 v13, v12 :: v_dual_mov_b32 v12, v9
	v_dual_mov_b32 v14, v11 :: v_dual_mov_b32 v11, v8
.LBB8_15:
	s_or_b32 exec_lo, exec_lo, s0
	s_delay_alu instid0(VALU_DEP_2) | instskip(SKIP_1) | instid1(VALU_DEP_3)
	v_mul_lo_u32 v6, 0x161, v13
	v_mov_b32_e32 v8, 0
	v_mul_lo_u32 v7, 0x1f01, v11
	v_mul_lo_u32 v9, 0xb9b, v14
	s_mov_b32 s0, exec_lo
	global_load_b64 v[4:5], v8, s[2:3]
	s_wait_loadcnt 0x0
	global_load_b32 v4, v[4:5], off
	s_wait_dscnt 0x0
	s_wait_xcnt 0x0
	v_mul_lo_u32 v5, 0x38f, v12
	s_delay_alu instid0(VALU_DEP_1) | instskip(NEXT) | instid1(VALU_DEP_1)
	v_xor_b32_e32 v5, v5, v6
	v_xor3_b32 v6, v5, v9, v7
	s_delay_alu instid0(VALU_DEP_1) | instskip(SKIP_3) | instid1(SALU_CYCLE_1)
	v_ashrrev_i32_e32 v7, 31, v6
	s_wait_loadcnt 0x0
	v_readfirstlane_b32 s2, v4
                                        ; implicit-def: $vgpr4_vgpr5
	s_ashr_i32 s3, s2, 31
	v_or_b32_e32 v9, s3, v7
	s_delay_alu instid0(VALU_DEP_1)
	v_cmpx_ne_u64_e32 0, v[8:9]
	s_xor_b32 s1, exec_lo, s0
	s_cbranch_execz .LBB8_17
; %bb.16:
	s_cvt_f32_u32 s0, s2
	s_cvt_f32_u32 s4, s3
	s_sub_nc_u64 s[6:7], 0, s[2:3]
	s_mov_b32 s11, 0
	v_dual_mov_b32 v4, v6 :: v_dual_mov_b32 v5, v8
	s_fmamk_f32 s0, s4, 0x4f800000, s0
	v_dual_mov_b32 v16, v7 :: v_dual_mov_b32 v17, v8
	v_dual_mov_b32 v21, v8 :: v_dual_mov_b32 v9, v8
	s_delay_alu instid0(SALU_CYCLE_1) | instskip(NEXT) | instid1(TRANS32_DEP_1)
	v_s_rcp_f32 s0, s0
	s_mul_f32 s0, s0, 0x5f7ffffc
	s_delay_alu instid0(SALU_CYCLE_3) | instskip(NEXT) | instid1(SALU_CYCLE_3)
	s_mul_f32 s4, s0, 0x2f800000
	s_trunc_f32 s4, s4
	s_delay_alu instid0(SALU_CYCLE_3) | instskip(SKIP_1) | instid1(SALU_CYCLE_2)
	s_fmamk_f32 s0, s4, 0xcf800000, s0
	s_cvt_u32_f32 s5, s4
	s_cvt_u32_f32 s4, s0
	s_delay_alu instid0(SALU_CYCLE_3) | instskip(NEXT) | instid1(SALU_CYCLE_1)
	s_mul_u64 s[8:9], s[6:7], s[4:5]
	s_mul_hi_u32 s13, s4, s9
	s_mul_i32 s12, s4, s9
	s_mul_hi_u32 s10, s4, s8
	s_mul_i32 s14, s5, s8
	s_add_nc_u64 s[12:13], s[10:11], s[12:13]
	s_mul_hi_u32 s0, s5, s8
	s_mul_hi_u32 s15, s5, s9
	s_mul_i32 s8, s5, s9
	s_add_co_u32 s9, s12, s14
	s_add_co_ci_u32 s10, s13, s0
	s_add_co_ci_u32 s9, s15, 0
	s_delay_alu instid0(SALU_CYCLE_1) | instskip(NEXT) | instid1(SALU_CYCLE_1)
	s_add_nc_u64 s[8:9], s[10:11], s[8:9]
	s_add_co_u32 s4, s4, s8
	s_cselect_b32 s0, -1, 0
	s_delay_alu instid0(SALU_CYCLE_1) | instskip(SKIP_1) | instid1(SALU_CYCLE_1)
	s_cmp_lg_u32 s0, 0
	s_add_co_ci_u32 s5, s5, s9
	s_mul_u64 s[6:7], s[6:7], s[4:5]
	s_delay_alu instid0(SALU_CYCLE_1)
	s_mul_hi_u32 s9, s4, s7
	s_mul_i32 s8, s4, s7
	s_mul_hi_u32 s10, s4, s6
	s_mul_i32 s12, s5, s6
	s_add_nc_u64 s[8:9], s[10:11], s[8:9]
	s_mul_hi_u32 s0, s5, s6
	s_mul_hi_u32 s13, s5, s7
	s_mul_i32 s6, s5, s7
	s_add_co_u32 s7, s8, s12
	s_add_co_ci_u32 s10, s9, s0
	s_add_co_ci_u32 s7, s13, 0
	s_delay_alu instid0(SALU_CYCLE_1) | instskip(NEXT) | instid1(SALU_CYCLE_1)
	s_add_nc_u64 s[6:7], s[10:11], s[6:7]
	s_add_co_u32 s0, s4, s6
	s_cselect_b32 s4, -1, 0
	v_nop
	v_mul_hi_u32 v20, v6, s0
	s_cmp_lg_u32 s4, 0
	s_add_co_ci_u32 s10, s5, s7
	s_mov_b64 s[4:5], 0xffffffff
	v_mul_u64_e32 v[4:5], s[10:11], v[4:5]
	s_and_b64 s[4:5], s[0:1], s[4:5]
	s_delay_alu instid0(SALU_CYCLE_1) | instskip(SKIP_1) | instid1(VALU_DEP_3)
	v_mul_u64_e32 v[18:19], s[4:5], v[16:17]
	v_mul_u64_e32 v[16:17], s[10:11], v[16:17]
	v_add_nc_u64_e32 v[4:5], v[20:21], v[4:5]
	s_delay_alu instid0(VALU_DEP_1) | instskip(NEXT) | instid1(VALU_DEP_2)
	v_add_co_u32 v4, vcc_lo, v4, v18
	v_add_co_ci_u32_e32 v8, vcc_lo, v5, v19, vcc_lo
	s_delay_alu instid0(VALU_DEP_4) | instskip(NEXT) | instid1(VALU_DEP_1)
	v_add_co_ci_u32_e32 v17, vcc_lo, 0, v17, vcc_lo
	v_add_nc_u64_e32 v[4:5], v[8:9], v[16:17]
	s_delay_alu instid0(VALU_DEP_1) | instskip(NEXT) | instid1(VALU_DEP_1)
	v_mul_u64_e32 v[4:5], s[2:3], v[4:5]
	v_sub_nc_u32_e32 v8, v7, v5
	s_delay_alu instid0(VALU_DEP_2) | instskip(NEXT) | instid1(VALU_DEP_1)
	v_sub_co_u32 v4, vcc_lo, v6, v4
	v_sub_co_ci_u32_e64 v5, null, v7, v5, vcc_lo
	s_delay_alu instid0(VALU_DEP_3) | instskip(NEXT) | instid1(VALU_DEP_3)
	v_subrev_co_ci_u32_e64 v6, null, s3, v8, vcc_lo
	v_sub_co_u32 v7, vcc_lo, v4, s2
	v_cmp_le_u32_e64 s0, s2, v4
	s_delay_alu instid0(VALU_DEP_3) | instskip(SKIP_1) | instid1(VALU_DEP_3)
	v_subrev_co_ci_u32_e64 v8, null, 0, v6, vcc_lo
	v_subrev_co_ci_u32_e64 v6, null, s3, v6, vcc_lo
	v_cndmask_b32_e64 v9, 0, -1, s0
	v_cmp_le_u32_e64 s0, s2, v7
	v_cmp_le_u32_e32 vcc_lo, s3, v5
	s_delay_alu instid0(VALU_DEP_2) | instskip(SKIP_3) | instid1(VALU_DEP_3)
	v_cndmask_b32_e64 v15, 0, -1, s0
	v_cmp_le_u32_e64 s0, s3, v8
	v_cndmask_b32_e64 v17, 0, -1, vcc_lo
	v_cmp_eq_u32_e32 vcc_lo, s3, v8
	v_cndmask_b32_e64 v16, 0, -1, s0
	v_cmp_eq_u32_e64 s0, s3, v5
	s_delay_alu instid0(VALU_DEP_2) | instskip(SKIP_1) | instid1(VALU_DEP_1)
	v_cndmask_b32_e32 v15, v16, v15, vcc_lo
	v_sub_co_u32 v16, vcc_lo, v7, s2
	v_subrev_co_ci_u32_e64 v6, null, 0, v6, vcc_lo
	s_delay_alu instid0(VALU_DEP_3) | instskip(NEXT) | instid1(VALU_DEP_2)
	v_cmp_ne_u32_e32 vcc_lo, 0, v15
	v_dual_cndmask_b32 v9, v17, v9, s0 :: v_dual_cndmask_b32 v6, v8, v6, vcc_lo
	s_delay_alu instid0(VALU_DEP_4) | instskip(NEXT) | instid1(VALU_DEP_2)
	v_cndmask_b32_e32 v7, v7, v16, vcc_lo
	v_cmp_ne_u32_e32 vcc_lo, 0, v9
	s_delay_alu instid0(VALU_DEP_2)
	v_dual_cndmask_b32 v5, v5, v6 :: v_dual_cndmask_b32 v4, v4, v7
                                        ; implicit-def: $vgpr6_vgpr7
.LBB8_17:
	s_and_not1_saveexec_b32 s0, s1
	s_cbranch_execz .LBB8_19
; %bb.18:
	v_cvt_f32_u32_e32 v4, s2
	s_sub_co_i32 s1, 0, s2
	s_delay_alu instid0(VALU_DEP_1) | instskip(SKIP_1) | instid1(TRANS32_DEP_1)
	v_rcp_iflag_f32_e32 v4, v4
	v_nop
	v_mul_f32_e32 v4, 0x4f7ffffe, v4
	s_delay_alu instid0(VALU_DEP_1) | instskip(NEXT) | instid1(VALU_DEP_1)
	v_cvt_u32_f32_e32 v4, v4
	v_mul_lo_u32 v5, s1, v4
	s_delay_alu instid0(VALU_DEP_1) | instskip(NEXT) | instid1(VALU_DEP_1)
	v_mul_hi_u32 v5, v4, v5
	v_add_nc_u32_e32 v4, v4, v5
	s_delay_alu instid0(VALU_DEP_1) | instskip(NEXT) | instid1(VALU_DEP_1)
	v_mul_hi_u32 v4, v6, v4
	v_mul_lo_u32 v4, v4, s2
	s_delay_alu instid0(VALU_DEP_1) | instskip(NEXT) | instid1(VALU_DEP_1)
	v_sub_nc_u32_e32 v4, v6, v4
	v_subrev_nc_u32_e32 v5, s2, v4
	v_cmp_le_u32_e32 vcc_lo, s2, v4
	s_delay_alu instid0(VALU_DEP_2) | instskip(NEXT) | instid1(VALU_DEP_1)
	v_cndmask_b32_e32 v4, v4, v5, vcc_lo
	v_subrev_nc_u32_e32 v5, s2, v4
	v_cmp_le_u32_e32 vcc_lo, s2, v4
	s_delay_alu instid0(VALU_DEP_2)
	v_dual_cndmask_b32 v4, v4, v5 :: v_dual_mov_b32 v5, 0
.LBB8_19:
	s_or_b32 exec_lo, exec_lo, s0
	s_mov_b32 s0, 0
                                        ; implicit-def: $sgpr1
                                        ; implicit-def: $vgpr8
	s_branch .LBB8_22
.LBB8_20:                               ;   in Loop: Header=BB8_22 Depth=1
	s_or_b32 exec_lo, exec_lo, s5
	s_xor_b32 s3, s4, -1
	s_and_not1_b32 s1, s1, exec_lo
	s_and_b32 s3, s3, exec_lo
	s_delay_alu instid0(SALU_CYCLE_1)
	s_or_b32 s1, s1, s3
.LBB8_21:                               ;   in Loop: Header=BB8_22 Depth=1
	s_or_b32 exec_lo, exec_lo, s2
	v_mov_b32_e32 v8, v6
	s_and_b32 s2, exec_lo, s1
	s_delay_alu instid0(SALU_CYCLE_1) | instskip(NEXT) | instid1(SALU_CYCLE_1)
	s_or_b32 s0, s2, s0
	s_and_not1_b32 exec_lo, exec_lo, s0
	s_cbranch_execz .LBB8_31
.LBB8_22:                               ; =>This Inner Loop Header: Depth=1
	s_delay_alu instid0(VALU_DEP_1)
	v_lshl_add_u64 v[4:5], v[4:5], 3, v[40:41]
	v_mov_b32_e32 v6, -1
	s_or_b32 s1, s1, exec_lo
	s_mov_b32 s2, exec_lo
	flat_load_b32 v4, v[4:5] offset:4
	s_wait_loadcnt_dscnt 0x0
	v_cmpx_ne_u32_e32 -1, v4
	s_cbranch_execz .LBB8_21
; %bb.23:                               ;   in Loop: Header=BB8_22 Depth=1
	v_ashrrev_i32_e32 v5, 31, v4
	s_mov_b32 s4, exec_lo
	s_delay_alu instid0(VALU_DEP_1) | instskip(SKIP_3) | instid1(VALU_DEP_1)
	v_lshl_add_u64 v[6:7], v[4:5], 3, v[40:41]
	flat_load_b32 v6, v[6:7]
	s_wait_loadcnt_dscnt 0x0
	v_ashrrev_i32_e32 v7, 31, v6
	v_lshl_add_u64 v[16:17], v[6:7], 2, v[56:57]
	flat_load_b32 v9, v[16:17]
	s_wait_loadcnt_dscnt 0x0
	v_cmp_ne_u32_e64 s3, v9, v11
	s_wait_xcnt 0x0
	v_cmpx_eq_u32_e64 v9, v11
	s_cbranch_execz .LBB8_29
; %bb.24:                               ;   in Loop: Header=BB8_22 Depth=1
	v_lshl_add_u64 v[16:17], v[6:7], 2, v[46:47]
	s_mov_b32 s6, exec_lo
	flat_load_b32 v9, v[16:17]
	s_wait_loadcnt_dscnt 0x0
	v_cmp_ne_u32_e64 s5, v9, v14
	s_wait_xcnt 0x0
	v_cmpx_eq_u32_e64 v9, v14
	s_cbranch_execz .LBB8_28
; %bb.25:                               ;   in Loop: Header=BB8_22 Depth=1
	v_lshl_add_u64 v[16:17], v[6:7], 2, v[44:45]
	s_mov_b32 s8, exec_lo
	flat_load_b32 v9, v[16:17]
	s_wait_loadcnt_dscnt 0x0
	v_cmp_ne_u32_e64 s7, v9, v12
	s_wait_xcnt 0x0
	v_cmpx_eq_u32_e64 v9, v12
	s_cbranch_execz .LBB8_27
; %bb.26:                               ;   in Loop: Header=BB8_22 Depth=1
	v_lshl_add_u64 v[16:17], v[6:7], 2, v[42:43]
	s_and_not1_b32 s7, s7, exec_lo
	flat_load_b32 v7, v[16:17]
	s_wait_loadcnt_dscnt 0x0
	v_cmp_ne_u32_e32 vcc_lo, v7, v13
	s_and_b32 s9, vcc_lo, exec_lo
	s_delay_alu instid0(SALU_CYCLE_1)
	s_or_b32 s7, s7, s9
.LBB8_27:                               ;   in Loop: Header=BB8_22 Depth=1
	s_wait_xcnt 0x0
	s_or_b32 exec_lo, exec_lo, s8
	s_delay_alu instid0(SALU_CYCLE_1) | instskip(SKIP_1) | instid1(SALU_CYCLE_1)
	s_and_not1_b32 s5, s5, exec_lo
	s_and_b32 s7, s7, exec_lo
	s_or_b32 s5, s5, s7
.LBB8_28:                               ;   in Loop: Header=BB8_22 Depth=1
	s_or_b32 exec_lo, exec_lo, s6
	s_delay_alu instid0(SALU_CYCLE_1) | instskip(SKIP_1) | instid1(SALU_CYCLE_1)
	s_and_not1_b32 s3, s3, exec_lo
	s_and_b32 s5, s5, exec_lo
	s_or_b32 s3, s3, s5
.LBB8_29:                               ;   in Loop: Header=BB8_22 Depth=1
	s_or_b32 exec_lo, exec_lo, s4
	s_mov_b32 s4, 0
	s_and_saveexec_b32 s5, s3
	s_cbranch_execz .LBB8_20
; %bb.30:                               ;   in Loop: Header=BB8_22 Depth=1
	v_mov_b32_e32 v6, v8
	s_mov_b32 s4, exec_lo
	s_branch .LBB8_20
.LBB8_31:
	s_or_b32 exec_lo, exec_lo, s0
	s_delay_alu instid0(SALU_CYCLE_1)
	s_mov_b32 s0, exec_lo
	v_cmpx_ne_u32_e64 v6, v10
	s_cbranch_execz .LBB8_33
; %bb.32:
	v_dual_mov_b32 v4, -1 :: v_dual_mov_b32 v10, v6
	flat_store_b32 v[2:3], v4 offset:4
	flat_store_b32 v[0:1], v4 offset:4
.LBB8_33:
	s_wait_xcnt 0x0
	s_or_b32 exec_lo, exec_lo, s0
	flat_store_b32 v[88:89], v10
.LBB8_34:
	s_wait_xcnt 0x0
	s_or_b32 exec_lo, exec_lo, s34
	s_clause 0x1a
	scratch_load_b32 v91, off, s33
	scratch_load_b32 v90, off, s33 offset:4
	scratch_load_b32 v89, off, s33 offset:8
	;; [unrolled: 1-line block ×26, first 2 shown]
	v_readlane_b32 s30, v79, 3
	v_readlane_b32 s31, v79, 4
	;; [unrolled: 1-line block ×5, first 2 shown]
	s_mov_b32 s32, s33
	v_readlane_b32 s0, v79, 5
	s_wait_xcnt 0x0
	s_or_saveexec_b32 s1, -1
	scratch_load_b32 v79, off, s33 offset:108 ; 4-byte Folded Reload
	s_wait_xcnt 0x0
	s_mov_b32 exec_lo, s1
	s_mov_b32 s33, s0
	s_wait_loadcnt_dscnt 0x0
	s_set_pc_i64 s[30:31]
.Lfunc_end8:
	.size	_Z10BuildSubgriiPN2rw7LibraryEPimS2_S2_S2_S2_S2_PNS_9TableNodeEi, .Lfunc_end8-_Z10BuildSubgriiPN2rw7LibraryEPimS2_S2_S2_S2_S2_PNS_9TableNodeEi
                                        ; -- End function
	.set .L_Z10BuildSubgriiPN2rw7LibraryEPimS2_S2_S2_S2_S2_PNS_9TableNodeEi.num_vgpr, 92
	.set .L_Z10BuildSubgriiPN2rw7LibraryEPimS2_S2_S2_S2_S2_PNS_9TableNodeEi.num_agpr, 0
	.set .L_Z10BuildSubgriiPN2rw7LibraryEPimS2_S2_S2_S2_S2_PNS_9TableNodeEi.numbered_sgpr, 38
	.set .L_Z10BuildSubgriiPN2rw7LibraryEPimS2_S2_S2_S2_S2_PNS_9TableNodeEi.num_named_barrier, 0
	.set .L_Z10BuildSubgriiPN2rw7LibraryEPimS2_S2_S2_S2_S2_PNS_9TableNodeEi.private_seg_size, 128
	.set .L_Z10BuildSubgriiPN2rw7LibraryEPimS2_S2_S2_S2_S2_PNS_9TableNodeEi.uses_vcc, 1
	.set .L_Z10BuildSubgriiPN2rw7LibraryEPimS2_S2_S2_S2_S2_PNS_9TableNodeEi.uses_flat_scratch, 1
	.set .L_Z10BuildSubgriiPN2rw7LibraryEPimS2_S2_S2_S2_S2_PNS_9TableNodeEi.has_dyn_sized_stack, 0
	.set .L_Z10BuildSubgriiPN2rw7LibraryEPimS2_S2_S2_S2_S2_PNS_9TableNodeEi.has_recursion, 1
	.set .L_Z10BuildSubgriiPN2rw7LibraryEPimS2_S2_S2_S2_S2_PNS_9TableNodeEi.has_indirect_call, 0
	.section	.AMDGPU.csdata,"",@progbits
; Function info:
; codeLenInByte = 4352
; TotalNumSgprs: 40
; NumVgprs: 92
; ScratchSize: 128
; MemoryBound: 0
	.text
	.protected	_Z12ReplaceSubgriPiS_S_S_S_PN2rw3CutEPNS0_7LibraryEPNS0_9TableNodeES6_S_S_ ; -- Begin function _Z12ReplaceSubgriPiS_S_S_S_PN2rw3CutEPNS0_7LibraryEPNS0_9TableNodeES6_S_S_
	.globl	_Z12ReplaceSubgriPiS_S_S_S_PN2rw3CutEPNS0_7LibraryEPNS0_9TableNodeES6_S_S_
	.p2align	8
	.type	_Z12ReplaceSubgriPiS_S_S_S_PN2rw3CutEPNS0_7LibraryEPNS0_9TableNodeES6_S_S_,@function
_Z12ReplaceSubgriPiS_S_S_S_PN2rw3CutEPNS0_7LibraryEPNS0_9TableNodeES6_S_S_: ; @_Z12ReplaceSubgriPiS_S_S_S_PN2rw3CutEPNS0_7LibraryEPNS0_9TableNodeES6_S_S_
; %bb.0:
	s_clause 0x1
	s_load_b32 s2, s[0:1], 0x6c
	s_load_b32 s24, s[0:1], 0x0
	s_bfe_u32 s3, ttmp6, 0x4000c
	s_and_b32 s4, ttmp6, 15
	s_add_co_i32 s3, s3, 1
	s_getreg_b32 s5, hwreg(HW_REG_IB_STS2, 6, 4)
	s_mul_i32 s3, ttmp9, s3
	s_movk_i32 s32, 0x100
	s_add_co_i32 s4, s4, s3
	s_wait_kmcnt 0x0
	s_and_b32 s2, s2, 0xffff
	s_cmp_eq_u32 s5, 0
	s_cselect_b32 s3, ttmp9, s4
	s_delay_alu instid0(SALU_CYCLE_1) | instskip(SKIP_1) | instid1(VALU_DEP_1)
	v_mad_u32 v40, s3, s2, v0
	s_mov_b32 s2, exec_lo
	v_cmpx_gt_u32_e64 s24, v40
	s_cbranch_execz .LBB9_39
; %bb.1:
	s_load_b512 s[4:19], s[0:1], 0x8
	s_wait_kmcnt 0x0
	v_mad_nc_i64_i32 v[8:9], v40, 28, s[14:15]
	s_clause 0x1
	global_load_b128 v[0:3], v[8:9], off offset:40
	global_load_b128 v[4:7], v[8:9], off offset:28
	s_wait_loadcnt 0x1
	s_clause 0x1
	scratch_store_b128 off, v[0:3], off offset:12
	scratch_load_u8 v0, off, off offset:24
	s_wait_loadcnt 0x1
	scratch_store_b128 off, v[4:7], off
	s_wait_loadcnt 0x0
	v_cmp_ne_u16_e32 vcc_lo, 0, v0
	s_wait_xcnt 0x0
	s_and_b32 exec_lo, exec_lo, vcc_lo
	s_cbranch_execz .LBB9_39
; %bb.2:
	scratch_load_b32 v1, off, off offset:20
	s_wait_loadcnt 0x0
	v_bfe_u32 v0, v1, 27, 4
	s_delay_alu instid0(VALU_DEP_1)
	v_cmp_lt_u32_e32 vcc_lo, 2, v0
	s_wait_xcnt 0x0
	s_and_b32 exec_lo, exec_lo, vcc_lo
	s_cbranch_execz .LBB9_39
; %bb.3:
	v_ashrrev_i32_e32 v41, 31, v40
	s_mov_b32 s2, exec_lo
	v_cmpx_eq_u32_e32 3, v0
	s_cbranch_execz .LBB9_5
; %bb.4:
	s_mov_b32 s3, 0x87ffffff
	v_mov_b32_e32 v0, 0
	v_and_or_b32 v1, v1, s3, 0x20000000
	scratch_store_b64 off, v[0:1], off offset:16
.LBB9_5:
	s_wait_xcnt 0x0
	s_or_b32 exec_lo, exec_lo, s2
	v_and_b32_e32 v16, 0xffff, v1
	v_lshl_add_u64 v[2:3], v[40:41], 2, s[4:5]
	s_mov_b32 s20, -1
	s_mov_b32 s4, exec_lo
	s_mov_b32 s21, s20
	s_clause 0x1
	global_load_b32 v0, v16, s[16:17] offset:262144 scale_offset
	global_load_b32 v1, v16, s[16:17] offset:524672 scale_offset
	s_mov_b32 s22, s20
	s_mov_b32 s23, s20
	global_load_b32 v10, v[2:3], off offset:4
	s_wait_loadcnt 0x2
	global_load_b128 v[6:9], v0, s[16:17] offset:524288 scale_offset
	s_wait_loadcnt 0x2
	v_mad_nc_i64_i32 v[4:5], 0x50, v1, s[16:17]
	s_wait_loadcnt 0x1
	v_ashrrev_i32_e32 v11, 31, v10
	s_wait_xcnt 0x1
	s_delay_alu instid0(VALU_DEP_1)
	v_lshl_add_u64 v[2:3], v[10:11], 2, v[4:5]
	global_load_b32 v0, v[2:3], off offset:788592
	s_wait_loadcnt 0x1
	s_clause 0x3
	scratch_load_b32 v12, v6, off offset:4 scale_offset
	scratch_load_b32 v13, v7, off offset:4 scale_offset
	scratch_load_b32 v14, v8, off offset:4 scale_offset
	scratch_load_b32 v15, v9, off offset:4 scale_offset
	global_load_b32 v10, v16, s[16:17] scale_offset
	s_wait_xcnt 0x0
	v_mov_b64_e32 v[16:17], s[20:21]
	v_mov_b64_e32 v[18:19], s[22:23]
	v_mov_b64_e32 v[8:9], -1
	v_mov_b32_e32 v7, 0
	s_clause 0xc
	scratch_store_b128 off, v[16:19], off offset:64
	scratch_store_b128 off, v[16:19], off offset:80
	;; [unrolled: 1-line block ×11, first 2 shown]
	scratch_store_b64 off, v[8:9], off offset:240
	scratch_store_b128 off, v[16:19], off offset:48
	s_wait_loadcnt 0x1
	scratch_store_b128 off, v[12:15], off offset:32
	v_lshlrev_b64_e64 v[2:3], v0, 1
	s_wait_xcnt 0x0
	v_cmpx_lt_i32_e32 3, v0
	s_cbranch_execz .LBB9_11
; %bb.6:
	v_add_nc_u32_e32 v6, -4, v0
	s_mov_b64 s[2:3], 0
	s_mov_b32 s5, 0
	s_delay_alu instid0(VALU_DEP_1) | instskip(NEXT) | instid1(VALU_DEP_1)
	v_lshlrev_b64_e32 v[6:7], 2, v[6:7]
	v_mad_nc_i64_i32 v[6:7], 0xf0, v1, v[6:7]
	s_delay_alu instid0(VALU_DEP_1) | instskip(NEXT) | instid1(VALU_DEP_1)
	v_add_nc_u64_e32 v[6:7], s[16:17], v[6:7]
	v_add_nc_u64_e32 v[6:7], 0xd1df0, v[6:7]
	s_branch .LBB9_8
.LBB9_7:                                ;   in Loop: Header=BB9_8 Depth=1
	s_wait_xcnt 0x0
	s_or_b32 exec_lo, exec_lo, s14
	s_add_nc_u64 s[2:3], s[2:3], -1
	v_add_nc_u64_e32 v[6:7], -4, v[6:7]
	v_add3_u32 v8, v0, s2, 1
	s_delay_alu instid0(VALU_DEP_1) | instskip(SKIP_1) | instid1(SALU_CYCLE_1)
	v_cmp_gt_u32_e32 vcc_lo, 5, v8
	s_or_b32 s5, vcc_lo, s5
	s_and_not1_b32 exec_lo, exec_lo, s5
	s_cbranch_execz .LBB9_10
.LBB9_8:                                ; =>This Inner Loop Header: Depth=1
	v_add_nc_u32_e32 v8, s2, v0
	s_mov_b32 s14, exec_lo
	s_delay_alu instid0(VALU_DEP_1) | instskip(NEXT) | instid1(VALU_DEP_1)
	v_lshrrev_b64 v[8:9], v8, v[2:3]
	v_and_b32_e32 v8, 1, v8
	s_delay_alu instid0(VALU_DEP_1)
	v_cmpx_eq_u32_e32 1, v8
	s_cbranch_execz .LBB9_7
; %bb.9:                                ;   in Loop: Header=BB9_8 Depth=1
	s_clause 0x1
	global_load_b32 v8, v[6:7], off offset:-53280
	global_load_b32 v11, v[6:7], off
	s_wait_loadcnt 0x1
	v_lshlrev_b64_e64 v[8:9], v8, 1
	s_wait_loadcnt 0x0
	v_lshlrev_b64_e64 v[12:13], v11, 1
	s_delay_alu instid0(VALU_DEP_1) | instskip(NEXT) | instid1(VALU_DEP_2)
	v_or3_b32 v3, v9, v13, v3
	v_or3_b32 v2, v8, v12, v2
	s_branch .LBB9_7
.LBB9_10:
	s_or_b32 exec_lo, exec_lo, s5
.LBB9_11:
	s_delay_alu instid0(SALU_CYCLE_1)
	s_or_b32 exec_lo, exec_lo, s4
	v_mad_nc_i64_i32 v[8:9], 0xffffffb4, v1, v[4:5]
	s_wait_loadcnt 0x0
	v_dual_mov_b32 v4, 0 :: v_dual_bitop2_b32 v6, 15, v10 bitop3:0x40
	s_mov_b32 s5, 0
	s_mov_b32 s3, exec_lo
	s_delay_alu instid0(VALU_DEP_1)
	v_mov_b32_e32 v7, v4
	global_load_b32 v14, v[8:9], off offset:786816
	s_wait_loadcnt 0x0
	v_cmpx_lt_i32_e32 0, v14
	s_cbranch_execz .LBB9_37
; %bb.12:
	s_get_pc_i64 s[14:15]
	s_add_nc_u64 s[14:15], s[14:15], P@rel64+4
	v_mad_nc_i64_i32 v[8:9], 0xec, v1, v[8:9]
	s_load_b64 s[14:15], s[14:15], 0x0
	s_mov_b64 s[20:21], 0xffffffff
	s_mov_b32 s25, 0
	s_mov_b32 s4, s5
	s_branch .LBB9_14
.LBB9_13:                               ;   in Loop: Header=BB9_14 Depth=1
	s_wait_xcnt 0x0
	s_or_b32 exec_lo, exec_lo, s26
	s_add_co_i32 s4, s4, 1
	s_delay_alu instid0(SALU_CYCLE_1) | instskip(SKIP_1) | instid1(SALU_CYCLE_1)
	v_cmp_eq_u32_e32 vcc_lo, s4, v14
	s_or_b32 s25, vcc_lo, s25
	s_and_not1_b32 exec_lo, exec_lo, s25
	s_cbranch_execz .LBB9_37
.LBB9_14:                               ; =>This Loop Header: Depth=1
                                        ;     Child Loop BB9_26 Depth 2
	s_add_co_i32 s2, s4, 4
	s_mov_b32 s26, exec_lo
	v_lshrrev_b64 v[10:11], s2, v[2:3]
	s_delay_alu instid0(VALU_DEP_1) | instskip(NEXT) | instid1(VALU_DEP_1)
	v_and_b32_e32 v5, 1, v10
	v_cmpx_eq_u32_e32 1, v5
	s_cbranch_execz .LBB9_13
; %bb.15:                               ;   in Loop: Header=BB9_14 Depth=1
	v_lshl_add_u64 v[10:11], s[4:5], 2, v[8:9]
	global_load_b32 v12, v[10:11], off offset:806352
	s_wait_loadcnt 0x0
	scratch_load_b32 v15, v12, off offset:32 scale_offset
	s_wait_loadcnt 0x0
	v_cmp_ne_u32_e32 vcc_lo, -1, v15
	s_wait_xcnt 0x0
	s_and_b32 exec_lo, exec_lo, vcc_lo
	s_cbranch_execz .LBB9_13
; %bb.16:                               ;   in Loop: Header=BB9_14 Depth=1
	global_load_b32 v13, v[10:11], off offset:859632
	s_wait_loadcnt 0x0
	scratch_load_b32 v5, v13, off offset:32 scale_offset
	s_wait_loadcnt 0x0
	v_cmp_ne_u32_e32 vcc_lo, -1, v5
	s_wait_xcnt 0x0
	s_and_b32 exec_lo, exec_lo, vcc_lo
	s_cbranch_execz .LBB9_13
; %bb.17:                               ;   in Loop: Header=BB9_14 Depth=1
	s_clause 0x1
	global_load_b32 v16, v[10:11], off offset:966192
	global_load_b32 v17, v[10:11], off offset:912912
	s_wait_xcnt 0x0
	v_lshrrev_b64 v[10:11], v13, v[6:7]
	v_lshrrev_b64 v[12:13], v12, v[6:7]
	s_mov_b32 s2, exec_lo
	v_mov_b32_e32 v18, v5
	s_wait_loadcnt 0x1
	s_delay_alu instid0(VALU_DEP_3) | instskip(SKIP_1) | instid1(VALU_DEP_3)
	v_bitop3_b32 v10, v16, v10, 1 bitop3:0x78
	s_wait_loadcnt 0x0
	v_bitop3_b32 v16, v17, v12, 1 bitop3:0x78
	s_delay_alu instid0(VALU_DEP_2)
	v_mov_b32_e32 v17, v10
	v_cmpx_gt_i32_e64 v15, v5
; %bb.18:                               ;   in Loop: Header=BB9_14 Depth=1
	s_delay_alu instid0(VALU_DEP_3)
	v_dual_mov_b32 v17, v16 :: v_dual_mov_b32 v16, v10
	v_dual_mov_b32 v18, v15 :: v_dual_mov_b32 v15, v5
; %bb.19:                               ;   in Loop: Header=BB9_14 Depth=1
	s_or_b32 exec_lo, exec_lo, s2
	s_delay_alu instid0(VALU_DEP_2) | instskip(NEXT) | instid1(VALU_DEP_3)
	v_mul_lo_u32 v5, 0x38f, v16
	v_mul_lo_u32 v10, 0x161, v17
	s_wait_kmcnt 0x0
	s_load_b32 s22, s[14:15], 0x0
	v_mul_lo_u32 v11, 0x1f01, v15
	v_mul_lo_u32 v12, 0xb9b, v18
	s_mov_b32 s2, exec_lo
	s_delay_alu instid0(VALU_DEP_3) | instskip(NEXT) | instid1(VALU_DEP_1)
	v_xor_b32_e32 v5, v5, v10
	v_xor3_b32 v10, v5, v12, v11
                                        ; implicit-def: $vgpr12_vgpr13
	s_wait_kmcnt 0x0
	s_ashr_i32 s23, s22, 31
	s_delay_alu instid0(VALU_DEP_1) | instskip(NEXT) | instid1(VALU_DEP_1)
	v_ashrrev_i32_e32 v11, 31, v10
	v_or_b32_e32 v5, s23, v11
	s_delay_alu instid0(VALU_DEP_1)
	v_cmpx_ne_u64_e32 0, v[4:5]
	s_xor_b32 s27, exec_lo, s2
	s_cbranch_execz .LBB9_21
; %bb.20:                               ;   in Loop: Header=BB9_14 Depth=1
	s_cvt_f32_u32 s2, s22
	s_cvt_f32_u32 s28, s23
	s_sub_nc_u64 s[30:31], 0, s[22:23]
	s_mov_b32 s35, s5
	s_mov_b32 s39, s5
	s_fmamk_f32 s2, s28, 0x4f800000, s2
	v_dual_mov_b32 v12, v10 :: v_dual_mov_b32 v13, v4
	v_dual_mov_b32 v20, v11 :: v_dual_mov_b32 v21, v4
	s_delay_alu instid0(SALU_CYCLE_1) | instskip(SKIP_1) | instid1(TRANS32_DEP_1)
	v_s_rcp_f32 s2, s2
	v_mov_b32_e32 v25, v4
	s_mul_f32 s2, s2, 0x5f7ffffc
	s_delay_alu instid0(SALU_CYCLE_3) | instskip(NEXT) | instid1(SALU_CYCLE_3)
	s_mul_f32 s28, s2, 0x2f800000
	s_trunc_f32 s28, s28
	s_delay_alu instid0(SALU_CYCLE_3) | instskip(SKIP_1) | instid1(SALU_CYCLE_2)
	s_fmamk_f32 s2, s28, 0xcf800000, s2
	s_cvt_u32_f32 s29, s28
	s_cvt_u32_f32 s28, s2
	s_delay_alu instid0(SALU_CYCLE_3) | instskip(NEXT) | instid1(SALU_CYCLE_1)
	s_mul_u64 s[36:37], s[30:31], s[28:29]
	s_mul_hi_u32 s41, s28, s37
	s_mul_i32 s40, s28, s37
	s_mul_hi_u32 s34, s28, s36
	s_mul_i32 s33, s29, s36
	s_add_nc_u64 s[34:35], s[34:35], s[40:41]
	s_mul_hi_u32 s2, s29, s36
	s_mul_hi_u32 s42, s29, s37
	s_add_co_u32 s33, s34, s33
	s_add_co_ci_u32 s38, s35, s2
	s_mul_i32 s36, s29, s37
	s_add_co_ci_u32 s37, s42, 0
	s_delay_alu instid0(SALU_CYCLE_1) | instskip(SKIP_3) | instid1(SALU_CYCLE_1)
	s_add_nc_u64 s[34:35], s[38:39], s[36:37]
	s_mov_b32 s37, s5
	s_add_co_u32 s28, s28, s34
	s_cselect_b32 s2, -1, 0
	s_cmp_lg_u32 s2, 0
	s_add_co_ci_u32 s29, s29, s35
	s_mov_b32 s35, s5
	s_mul_u64 s[30:31], s[30:31], s[28:29]
	s_delay_alu instid0(SALU_CYCLE_1)
	s_mul_hi_u32 s39, s28, s31
	s_mul_i32 s38, s28, s31
	s_mul_hi_u32 s34, s28, s30
	s_mul_i32 s33, s29, s30
	s_add_nc_u64 s[34:35], s[34:35], s[38:39]
	s_mul_hi_u32 s2, s29, s30
	s_mul_hi_u32 s40, s29, s31
	s_mul_i32 s30, s29, s31
	s_add_co_u32 s31, s34, s33
	s_add_co_ci_u32 s36, s35, s2
	s_add_co_ci_u32 s31, s40, 0
	s_mov_b32 s35, s5
	s_add_nc_u64 s[30:31], s[36:37], s[30:31]
	s_delay_alu instid0(SALU_CYCLE_1)
	s_add_co_u32 s2, s28, s30
	s_cselect_b32 s28, -1, 0
	v_mul_hi_u32 v24, v10, s2
	s_cmp_lg_u32 s28, 0
	s_add_co_ci_u32 s34, s29, s31
	s_and_b64 s[28:29], s[2:3], s[20:21]
	v_mul_u64_e32 v[12:13], s[34:35], v[12:13]
	v_mul_u64_e32 v[22:23], s[28:29], v[20:21]
	;; [unrolled: 1-line block ×3, first 2 shown]
	s_delay_alu instid0(VALU_DEP_3) | instskip(NEXT) | instid1(VALU_DEP_1)
	v_add_nc_u64_e32 v[12:13], v[24:25], v[12:13]
	v_add_co_u32 v5, vcc_lo, v12, v22
	s_delay_alu instid0(VALU_DEP_2) | instskip(NEXT) | instid1(VALU_DEP_4)
	v_add_co_ci_u32_e32 v24, vcc_lo, v13, v23, vcc_lo
	v_add_co_ci_u32_e32 v21, vcc_lo, 0, v21, vcc_lo
	s_delay_alu instid0(VALU_DEP_1) | instskip(NEXT) | instid1(VALU_DEP_1)
	v_add_nc_u64_e32 v[12:13], v[24:25], v[20:21]
	v_mul_u64_e32 v[12:13], s[22:23], v[12:13]
	s_delay_alu instid0(VALU_DEP_1) | instskip(NEXT) | instid1(VALU_DEP_2)
	v_sub_nc_u32_e32 v5, v11, v13
	v_sub_co_u32 v10, vcc_lo, v10, v12
	s_delay_alu instid0(VALU_DEP_1) | instskip(NEXT) | instid1(VALU_DEP_3)
	v_sub_co_ci_u32_e64 v11, null, v11, v13, vcc_lo
	v_subrev_co_ci_u32_e64 v5, null, s23, v5, vcc_lo
	s_delay_alu instid0(VALU_DEP_3) | instskip(SKIP_1) | instid1(VALU_DEP_3)
	v_sub_co_u32 v12, vcc_lo, v10, s22
	v_cmp_le_u32_e64 s2, s22, v10
	v_subrev_co_ci_u32_e64 v13, null, 0, v5, vcc_lo
	v_subrev_co_ci_u32_e64 v5, null, s23, v5, vcc_lo
	s_delay_alu instid0(VALU_DEP_3) | instskip(SKIP_2) | instid1(VALU_DEP_2)
	v_cndmask_b32_e64 v19, 0, -1, s2
	v_cmp_le_u32_e64 s2, s22, v12
	v_cmp_le_u32_e32 vcc_lo, s23, v11
	v_cndmask_b32_e64 v20, 0, -1, s2
	v_cmp_le_u32_e64 s2, s23, v13
	v_cndmask_b32_e64 v22, 0, -1, vcc_lo
	v_cmp_eq_u32_e32 vcc_lo, s23, v13
	s_delay_alu instid0(VALU_DEP_3) | instskip(SKIP_1) | instid1(VALU_DEP_1)
	v_cndmask_b32_e64 v21, 0, -1, s2
	v_cmp_eq_u32_e64 s2, s23, v11
	v_dual_cndmask_b32 v20, v21, v20, vcc_lo :: v_dual_cndmask_b32 v19, v22, v19, s2
	v_sub_co_u32 v21, vcc_lo, v12, s22
	s_delay_alu instid0(VALU_DEP_1) | instskip(NEXT) | instid1(VALU_DEP_3)
	v_subrev_co_ci_u32_e64 v5, null, 0, v5, vcc_lo
	v_cmp_ne_u32_e32 vcc_lo, 0, v20
	s_delay_alu instid0(VALU_DEP_3) | instskip(NEXT) | instid1(VALU_DEP_3)
	v_cndmask_b32_e32 v12, v12, v21, vcc_lo
	v_cndmask_b32_e32 v5, v13, v5, vcc_lo
	v_cmp_ne_u32_e32 vcc_lo, 0, v19
	s_delay_alu instid0(VALU_DEP_2)
	v_dual_cndmask_b32 v12, v10, v12 :: v_dual_cndmask_b32 v13, v11, v5
                                        ; implicit-def: $vgpr10_vgpr11
.LBB9_21:                               ;   in Loop: Header=BB9_14 Depth=1
	s_and_not1_saveexec_b32 s2, s27
	s_cbranch_execz .LBB9_23
; %bb.22:                               ;   in Loop: Header=BB9_14 Depth=1
	v_cvt_f32_u32_e32 v5, s22
	s_sub_co_i32 s23, 0, s22
	v_mov_b32_e32 v13, v4
	s_delay_alu instid0(VALU_DEP_2) | instskip(SKIP_1) | instid1(TRANS32_DEP_1)
	v_rcp_iflag_f32_e32 v5, v5
	v_nop
	v_mul_f32_e32 v5, 0x4f7ffffe, v5
	s_delay_alu instid0(VALU_DEP_1) | instskip(NEXT) | instid1(VALU_DEP_1)
	v_cvt_u32_f32_e32 v5, v5
	v_mul_lo_u32 v11, s23, v5
	s_delay_alu instid0(VALU_DEP_1) | instskip(NEXT) | instid1(VALU_DEP_1)
	v_mul_hi_u32 v11, v5, v11
	v_add_nc_u32_e32 v5, v5, v11
	s_delay_alu instid0(VALU_DEP_1) | instskip(NEXT) | instid1(VALU_DEP_1)
	v_mul_hi_u32 v5, v10, v5
	v_mul_lo_u32 v5, v5, s22
	s_delay_alu instid0(VALU_DEP_1) | instskip(NEXT) | instid1(VALU_DEP_1)
	v_sub_nc_u32_e32 v5, v10, v5
	v_subrev_nc_u32_e32 v10, s22, v5
	v_cmp_le_u32_e32 vcc_lo, s22, v5
	s_delay_alu instid0(VALU_DEP_2) | instskip(NEXT) | instid1(VALU_DEP_1)
	v_cndmask_b32_e32 v5, v5, v10, vcc_lo
	v_subrev_nc_u32_e32 v10, s22, v5
	v_cmp_le_u32_e32 vcc_lo, s22, v5
	s_delay_alu instid0(VALU_DEP_2)
	v_cndmask_b32_e32 v12, v5, v10, vcc_lo
.LBB9_23:                               ;   in Loop: Header=BB9_14 Depth=1
	s_or_b32 exec_lo, exec_lo, s2
	s_mov_b32 s2, 0
                                        ; implicit-def: $sgpr22
                                        ; implicit-def: $vgpr5
	s_branch .LBB9_26
.LBB9_24:                               ;   in Loop: Header=BB9_26 Depth=2
	s_or_b32 exec_lo, exec_lo, s29
	s_xor_b32 s27, s28, -1
	s_and_not1_b32 s22, s22, exec_lo
	s_and_b32 s27, s27, exec_lo
	s_delay_alu instid0(SALU_CYCLE_1)
	s_or_b32 s22, s22, s27
.LBB9_25:                               ;   in Loop: Header=BB9_26 Depth=2
	s_or_b32 exec_lo, exec_lo, s23
	v_mov_b32_e32 v5, v10
	s_and_b32 s23, exec_lo, s22
	s_delay_alu instid0(SALU_CYCLE_1) | instskip(NEXT) | instid1(SALU_CYCLE_1)
	s_or_b32 s2, s23, s2
	s_and_not1_b32 exec_lo, exec_lo, s2
	s_cbranch_execz .LBB9_35
.LBB9_26:                               ;   Parent Loop BB9_14 Depth=1
                                        ; =>  This Inner Loop Header: Depth=2
	s_delay_alu instid0(VALU_DEP_1)
	v_lshl_add_u64 v[10:11], v[12:13], 3, s[18:19]
	s_or_b32 s22, s22, exec_lo
	s_mov_b32 s23, exec_lo
	global_load_b32 v12, v[10:11], off offset:4
	s_wait_xcnt 0x0
	v_mov_b32_e32 v10, -1
	s_wait_loadcnt 0x0
	v_cmpx_ne_u32_e32 -1, v12
	s_cbranch_execz .LBB9_25
; %bb.27:                               ;   in Loop: Header=BB9_26 Depth=2
	v_ashrrev_i32_e32 v13, 31, v12
	s_mov_b32 s28, exec_lo
	s_delay_alu instid0(VALU_DEP_1)
	v_lshl_add_u64 v[10:11], v[12:13], 3, s[18:19]
	global_load_b32 v10, v[10:11], off
	s_wait_loadcnt 0x0
	global_load_b32 v11, v10, s[6:7] scale_offset
	s_wait_loadcnt 0x0
	v_cmp_ne_u32_e64 s27, v11, v15
	s_wait_xcnt 0x0
	v_cmpx_eq_u32_e64 v11, v15
	s_cbranch_execz .LBB9_33
; %bb.28:                               ;   in Loop: Header=BB9_26 Depth=2
	v_ashrrev_i32_e32 v11, 31, v10
	s_mov_b32 s30, exec_lo
	s_delay_alu instid0(VALU_DEP_1)
	v_lshl_add_u64 v[20:21], v[10:11], 2, s[8:9]
	global_load_b32 v19, v[20:21], off
	s_wait_loadcnt 0x0
	v_cmp_ne_u32_e64 s29, v19, v18
	s_wait_xcnt 0x0
	v_cmpx_eq_u32_e64 v19, v18
	s_cbranch_execz .LBB9_32
; %bb.29:                               ;   in Loop: Header=BB9_26 Depth=2
	v_lshl_add_u64 v[20:21], v[10:11], 2, s[10:11]
	s_mov_b32 s33, exec_lo
	global_load_b32 v19, v[20:21], off
	s_wait_loadcnt 0x0
	v_cmp_ne_u32_e64 s31, v19, v16
	s_wait_xcnt 0x0
	v_cmpx_eq_u32_e64 v19, v16
	s_cbranch_execz .LBB9_31
; %bb.30:                               ;   in Loop: Header=BB9_26 Depth=2
	v_lshl_add_u64 v[20:21], v[10:11], 2, s[12:13]
	s_and_not1_b32 s31, s31, exec_lo
	global_load_b32 v11, v[20:21], off
	s_wait_loadcnt 0x0
	v_cmp_ne_u32_e32 vcc_lo, v11, v17
	s_and_b32 s34, vcc_lo, exec_lo
	s_delay_alu instid0(SALU_CYCLE_1)
	s_or_b32 s31, s31, s34
.LBB9_31:                               ;   in Loop: Header=BB9_26 Depth=2
	s_wait_xcnt 0x0
	s_or_b32 exec_lo, exec_lo, s33
	s_delay_alu instid0(SALU_CYCLE_1) | instskip(SKIP_1) | instid1(SALU_CYCLE_1)
	s_and_not1_b32 s29, s29, exec_lo
	s_and_b32 s31, s31, exec_lo
	s_or_b32 s29, s29, s31
.LBB9_32:                               ;   in Loop: Header=BB9_26 Depth=2
	s_or_b32 exec_lo, exec_lo, s30
	s_delay_alu instid0(SALU_CYCLE_1) | instskip(SKIP_1) | instid1(SALU_CYCLE_1)
	s_and_not1_b32 s27, s27, exec_lo
	s_and_b32 s29, s29, exec_lo
	s_or_b32 s27, s27, s29
.LBB9_33:                               ;   in Loop: Header=BB9_26 Depth=2
	s_or_b32 exec_lo, exec_lo, s28
	s_mov_b32 s28, 0
	s_and_saveexec_b32 s29, s27
	s_cbranch_execz .LBB9_24
; %bb.34:                               ;   in Loop: Header=BB9_26 Depth=2
	v_mov_b32_e32 v10, v5
	s_mov_b32 s28, exec_lo
	s_branch .LBB9_24
.LBB9_35:                               ;   in Loop: Header=BB9_14 Depth=1
	s_or_b32 exec_lo, exec_lo, s2
	v_cmp_ne_u32_e32 vcc_lo, -1, v10
	s_and_b32 exec_lo, exec_lo, vcc_lo
	s_cbranch_execz .LBB9_13
; %bb.36:                               ;   in Loop: Header=BB9_14 Depth=1
	s_lshl_b32 s2, s4, 2
	s_delay_alu instid0(SALU_CYCLE_1)
	s_add_co_i32 s2, s2, 32
	scratch_store_b32 off, v10, s2 offset:16
	s_branch .LBB9_13
.LBB9_37:
	s_or_b32 exec_lo, exec_lo, s3
	scratch_load_b32 v2, v0, off offset:32 scale_offset
	v_add_nc_u32_e32 v3, 1, v40
	s_wait_loadcnt 0x0
	s_delay_alu instid0(VALU_DEP_1)
	v_cmp_ne_u32_e32 vcc_lo, v2, v3
	s_wait_xcnt 0x0
	s_and_b32 exec_lo, exec_lo, vcc_lo
	s_cbranch_execz .LBB9_39
; %bb.38:
	s_clause 0x1
	s_load_b128 s[48:51], s[0:1], 0x48
	s_load_b64 s[38:39], s[0:1], 0x58
	v_mbcnt_lo_u32_b32 v3, -1, 0
	v_dual_mov_b32 v2, 32 :: v_dual_mov_b32 v7, 0
	v_dual_mov_b32 v8, s6 :: v_dual_mov_b32 v9, s7
	s_delay_alu instid0(VALU_DEP_3) | instskip(SKIP_2) | instid1(VALU_DEP_3)
	v_dual_mov_b32 v10, s8 :: v_dual_lshlrev_b32 v3, 20, v3
	v_dual_mov_b32 v11, s9 :: v_dual_mov_b32 v12, s10
	v_dual_mov_b32 v13, s11 :: v_dual_mov_b32 v14, s12
	v_add_nc_u64_e32 v[4:5], src_flat_scratch_base_lo, v[2:3]
	v_dual_mov_b32 v2, s16 :: v_dual_mov_b32 v3, s17
	v_mov_b32_e32 v15, s13
	s_wait_xcnt 0x0
	s_get_pc_i64 s[0:1]
	s_add_nc_u64 s[0:1], s[0:1], _Z10BuildSubgriiPN2rw7LibraryEPimS2_S2_S2_S2_S2_PNS_9TableNodeEi@rel64+4
	v_lshl_add_u32 v42, v0, 2, 32
	s_wait_kmcnt 0x0
	v_dual_mov_b32 v20, s24 :: v_dual_mov_b32 v19, s49
	v_dual_mov_b32 v16, s50 :: v_dual_mov_b32 v17, s51
	v_mov_b32_e32 v18, s48
	s_swap_pc_i64 s[30:31], s[0:1]
	scratch_load_b32 v4, v42, off
	v_lshlrev_b64_e32 v[0:1], 2, v[40:41]
	s_delay_alu instid0(VALU_DEP_1)
	v_add_nc_u64_e32 v[2:3], s[50:51], v[0:1]
	v_add_nc_u64_e32 v[0:1], s[38:39], v[0:1]
	s_wait_loadcnt 0x0
	s_clause 0x1
	global_load_b32 v5, v4, s[50:51] scale_offset
	global_load_b32 v6, v[2:3], off offset:4
	s_wait_xcnt 0x0
	v_lshlrev_b32_e32 v2, 1, v4
	s_wait_loadcnt 0x0
	s_delay_alu instid0(VALU_DEP_1)
	v_xad_u32 v2, v6, v5, v2
	global_store_b32 v[0:1], v2, off offset:4
.LBB9_39:
	s_endpgm
	.section	.rodata,"a",@progbits
	.p2align	6, 0x0
	.amdhsa_kernel _Z12ReplaceSubgriPiS_S_S_S_PN2rw3CutEPNS0_7LibraryEPNS0_9TableNodeES6_S_S_
		.amdhsa_group_segment_fixed_size 0
		.amdhsa_private_segment_fixed_size 384
		.amdhsa_kernarg_size 352
		.amdhsa_user_sgpr_count 2
		.amdhsa_user_sgpr_dispatch_ptr 0
		.amdhsa_user_sgpr_queue_ptr 0
		.amdhsa_user_sgpr_kernarg_segment_ptr 1
		.amdhsa_user_sgpr_dispatch_id 0
		.amdhsa_user_sgpr_kernarg_preload_length 0
		.amdhsa_user_sgpr_kernarg_preload_offset 0
		.amdhsa_user_sgpr_private_segment_size 0
		.amdhsa_wavefront_size32 1
		.amdhsa_uses_dynamic_stack 1
		.amdhsa_enable_private_segment 1
		.amdhsa_system_sgpr_workgroup_id_x 1
		.amdhsa_system_sgpr_workgroup_id_y 0
		.amdhsa_system_sgpr_workgroup_id_z 0
		.amdhsa_system_sgpr_workgroup_info 0
		.amdhsa_system_vgpr_workitem_id 0
		.amdhsa_next_free_vgpr 92
		.amdhsa_next_free_sgpr 52
		.amdhsa_named_barrier_count 0
		.amdhsa_reserve_vcc 1
		.amdhsa_float_round_mode_32 0
		.amdhsa_float_round_mode_16_64 0
		.amdhsa_float_denorm_mode_32 3
		.amdhsa_float_denorm_mode_16_64 3
		.amdhsa_fp16_overflow 0
		.amdhsa_memory_ordered 1
		.amdhsa_forward_progress 1
		.amdhsa_inst_pref_size 23
		.amdhsa_round_robin_scheduling 0
		.amdhsa_exception_fp_ieee_invalid_op 0
		.amdhsa_exception_fp_denorm_src 0
		.amdhsa_exception_fp_ieee_div_zero 0
		.amdhsa_exception_fp_ieee_overflow 0
		.amdhsa_exception_fp_ieee_underflow 0
		.amdhsa_exception_fp_ieee_inexact 0
		.amdhsa_exception_int_div_zero 0
	.end_amdhsa_kernel
	.text
.Lfunc_end9:
	.size	_Z12ReplaceSubgriPiS_S_S_S_PN2rw3CutEPNS0_7LibraryEPNS0_9TableNodeES6_S_S_, .Lfunc_end9-_Z12ReplaceSubgriPiS_S_S_S_PN2rw3CutEPNS0_7LibraryEPNS0_9TableNodeES6_S_S_
                                        ; -- End function
	.set _Z12ReplaceSubgriPiS_S_S_S_PN2rw3CutEPNS0_7LibraryEPNS0_9TableNodeES6_S_S_.num_vgpr, max(43, .L_Z10BuildSubgriiPN2rw7LibraryEPimS2_S2_S2_S2_S2_PNS_9TableNodeEi.num_vgpr)
	.set _Z12ReplaceSubgriPiS_S_S_S_PN2rw3CutEPNS0_7LibraryEPNS0_9TableNodeES6_S_S_.num_agpr, max(0, .L_Z10BuildSubgriiPN2rw7LibraryEPimS2_S2_S2_S2_S2_PNS_9TableNodeEi.num_agpr)
	.set _Z12ReplaceSubgriPiS_S_S_S_PN2rw3CutEPNS0_7LibraryEPNS0_9TableNodeES6_S_S_.numbered_sgpr, max(52, .L_Z10BuildSubgriiPN2rw7LibraryEPimS2_S2_S2_S2_S2_PNS_9TableNodeEi.numbered_sgpr)
	.set _Z12ReplaceSubgriPiS_S_S_S_PN2rw3CutEPNS0_7LibraryEPNS0_9TableNodeES6_S_S_.num_named_barrier, max(0, .L_Z10BuildSubgriiPN2rw7LibraryEPimS2_S2_S2_S2_S2_PNS_9TableNodeEi.num_named_barrier)
	.set _Z12ReplaceSubgriPiS_S_S_S_PN2rw3CutEPNS0_7LibraryEPNS0_9TableNodeES6_S_S_.private_seg_size, 256+max(.L_Z10BuildSubgriiPN2rw7LibraryEPimS2_S2_S2_S2_S2_PNS_9TableNodeEi.private_seg_size)
	.set _Z12ReplaceSubgriPiS_S_S_S_PN2rw3CutEPNS0_7LibraryEPNS0_9TableNodeES6_S_S_.uses_vcc, or(1, .L_Z10BuildSubgriiPN2rw7LibraryEPimS2_S2_S2_S2_S2_PNS_9TableNodeEi.uses_vcc)
	.set _Z12ReplaceSubgriPiS_S_S_S_PN2rw3CutEPNS0_7LibraryEPNS0_9TableNodeES6_S_S_.uses_flat_scratch, or(1, .L_Z10BuildSubgriiPN2rw7LibraryEPimS2_S2_S2_S2_S2_PNS_9TableNodeEi.uses_flat_scratch)
	.set _Z12ReplaceSubgriPiS_S_S_S_PN2rw3CutEPNS0_7LibraryEPNS0_9TableNodeES6_S_S_.has_dyn_sized_stack, or(0, .L_Z10BuildSubgriiPN2rw7LibraryEPimS2_S2_S2_S2_S2_PNS_9TableNodeEi.has_dyn_sized_stack)
	.set _Z12ReplaceSubgriPiS_S_S_S_PN2rw3CutEPNS0_7LibraryEPNS0_9TableNodeES6_S_S_.has_recursion, or(1, .L_Z10BuildSubgriiPN2rw7LibraryEPimS2_S2_S2_S2_S2_PNS_9TableNodeEi.has_recursion)
	.set _Z12ReplaceSubgriPiS_S_S_S_PN2rw3CutEPNS0_7LibraryEPNS0_9TableNodeES6_S_S_.has_indirect_call, or(0, .L_Z10BuildSubgriiPN2rw7LibraryEPimS2_S2_S2_S2_S2_PNS_9TableNodeEi.has_indirect_call)
	.section	.AMDGPU.csdata,"",@progbits
; Kernel info:
; codeLenInByte = 2928
; TotalNumSgprs: 54
; NumVgprs: 92
; ScratchSize: 384
; MemoryBound: 0
; FloatMode: 240
; IeeeMode: 1
; LDSByteSize: 0 bytes/workgroup (compile time only)
; SGPRBlocks: 0
; VGPRBlocks: 5
; NumSGPRsForWavesPerEU: 54
; NumVGPRsForWavesPerEU: 92
; NamedBarCnt: 0
; Occupancy: 10
; WaveLimiterHint : 1
; COMPUTE_PGM_RSRC2:SCRATCH_EN: 1
; COMPUTE_PGM_RSRC2:USER_SGPR: 2
; COMPUTE_PGM_RSRC2:TRAP_HANDLER: 0
; COMPUTE_PGM_RSRC2:TGID_X_EN: 1
; COMPUTE_PGM_RSRC2:TGID_Y_EN: 0
; COMPUTE_PGM_RSRC2:TGID_Z_EN: 0
; COMPUTE_PGM_RSRC2:TIDIG_COMP_CNT: 0
	.text
	.protected	_Z15DetachAndAttachiPiS_S_ ; -- Begin function _Z15DetachAndAttachiPiS_S_
	.globl	_Z15DetachAndAttachiPiS_S_
	.p2align	8
	.type	_Z15DetachAndAttachiPiS_S_,@function
_Z15DetachAndAttachiPiS_S_:             ; @_Z15DetachAndAttachiPiS_S_
; %bb.0:
	s_clause 0x1
	s_load_b32 s2, s[0:1], 0x2c
	s_load_b32 s3, s[0:1], 0x0
	s_bfe_u32 s4, ttmp6, 0x4000c
	s_and_b32 s5, ttmp6, 15
	s_add_co_i32 s4, s4, 1
	s_getreg_b32 s6, hwreg(HW_REG_IB_STS2, 6, 4)
	s_mul_i32 s4, ttmp9, s4
	s_delay_alu instid0(SALU_CYCLE_1) | instskip(SKIP_4) | instid1(SALU_CYCLE_1)
	s_add_co_i32 s5, s5, s4
	s_wait_kmcnt 0x0
	s_and_b32 s2, s2, 0xffff
	s_cmp_eq_u32 s6, 0
	s_cselect_b32 s4, ttmp9, s5
	v_mad_u32 v0, s4, s2, v0
	s_mov_b32 s2, exec_lo
	s_delay_alu instid0(VALU_DEP_1)
	v_cmpx_gt_u32_e64 s3, v0
	s_cbranch_execz .LBB10_3
; %bb.1:
	s_load_b64 s[2:3], s[0:1], 0x18
	s_wait_kmcnt 0x0
	global_load_b32 v1, v0, s[2:3] offset:4 scale_offset
	s_wait_loadcnt 0x0
	v_cmp_ne_u32_e32 vcc_lo, -1, v1
	s_and_b32 exec_lo, exec_lo, vcc_lo
	s_cbranch_execz .LBB10_3
; %bb.2:
	s_load_b128 s[4:7], s[0:1], 0x8
	v_dual_mov_b32 v6, 1 :: v_dual_ashrrev_i32 v1, 31, v0
	s_delay_alu instid0(VALU_DEP_1) | instskip(SKIP_2) | instid1(VALU_DEP_2)
	v_lshlrev_b64_e32 v[2:3], 2, v[0:1]
	v_lshl_add_u64 v[0:1], v[0:1], 2, s[2:3]
	s_wait_kmcnt 0x0
	v_add_nc_u64_e32 v[4:5], s[4:5], v[2:3]
	global_store_b32 v[4:5], v6, off offset:4
	global_load_b32 v4, v[0:1], off offset:4
	s_wait_xcnt 0x0
	v_add_nc_u64_e32 v[0:1], s[6:7], v[2:3]
	s_wait_loadcnt 0x0
	global_store_b32 v[0:1], v4, off offset:4
.LBB10_3:
	s_endpgm
	.section	.rodata,"a",@progbits
	.p2align	6, 0x0
	.amdhsa_kernel _Z15DetachAndAttachiPiS_S_
		.amdhsa_group_segment_fixed_size 0
		.amdhsa_private_segment_fixed_size 0
		.amdhsa_kernarg_size 288
		.amdhsa_user_sgpr_count 2
		.amdhsa_user_sgpr_dispatch_ptr 0
		.amdhsa_user_sgpr_queue_ptr 0
		.amdhsa_user_sgpr_kernarg_segment_ptr 1
		.amdhsa_user_sgpr_dispatch_id 0
		.amdhsa_user_sgpr_kernarg_preload_length 0
		.amdhsa_user_sgpr_kernarg_preload_offset 0
		.amdhsa_user_sgpr_private_segment_size 0
		.amdhsa_wavefront_size32 1
		.amdhsa_uses_dynamic_stack 0
		.amdhsa_enable_private_segment 0
		.amdhsa_system_sgpr_workgroup_id_x 1
		.amdhsa_system_sgpr_workgroup_id_y 0
		.amdhsa_system_sgpr_workgroup_id_z 0
		.amdhsa_system_sgpr_workgroup_info 0
		.amdhsa_system_vgpr_workitem_id 0
		.amdhsa_next_free_vgpr 7
		.amdhsa_next_free_sgpr 8
		.amdhsa_named_barrier_count 0
		.amdhsa_reserve_vcc 1
		.amdhsa_float_round_mode_32 0
		.amdhsa_float_round_mode_16_64 0
		.amdhsa_float_denorm_mode_32 3
		.amdhsa_float_denorm_mode_16_64 3
		.amdhsa_fp16_overflow 0
		.amdhsa_memory_ordered 1
		.amdhsa_forward_progress 1
		.amdhsa_inst_pref_size 2
		.amdhsa_round_robin_scheduling 0
		.amdhsa_exception_fp_ieee_invalid_op 0
		.amdhsa_exception_fp_denorm_src 0
		.amdhsa_exception_fp_ieee_div_zero 0
		.amdhsa_exception_fp_ieee_overflow 0
		.amdhsa_exception_fp_ieee_underflow 0
		.amdhsa_exception_fp_ieee_inexact 0
		.amdhsa_exception_int_div_zero 0
	.end_amdhsa_kernel
	.text
.Lfunc_end10:
	.size	_Z15DetachAndAttachiPiS_S_, .Lfunc_end10-_Z15DetachAndAttachiPiS_S_
                                        ; -- End function
	.set _Z15DetachAndAttachiPiS_S_.num_vgpr, 7
	.set _Z15DetachAndAttachiPiS_S_.num_agpr, 0
	.set _Z15DetachAndAttachiPiS_S_.numbered_sgpr, 8
	.set _Z15DetachAndAttachiPiS_S_.num_named_barrier, 0
	.set _Z15DetachAndAttachiPiS_S_.private_seg_size, 0
	.set _Z15DetachAndAttachiPiS_S_.uses_vcc, 1
	.set _Z15DetachAndAttachiPiS_S_.uses_flat_scratch, 0
	.set _Z15DetachAndAttachiPiS_S_.has_dyn_sized_stack, 0
	.set _Z15DetachAndAttachiPiS_S_.has_recursion, 0
	.set _Z15DetachAndAttachiPiS_S_.has_indirect_call, 0
	.section	.AMDGPU.csdata,"",@progbits
; Kernel info:
; codeLenInByte = 232
; TotalNumSgprs: 10
; NumVgprs: 7
; ScratchSize: 0
; MemoryBound: 0
; FloatMode: 240
; IeeeMode: 1
; LDSByteSize: 0 bytes/workgroup (compile time only)
; SGPRBlocks: 0
; VGPRBlocks: 0
; NumSGPRsForWavesPerEU: 10
; NumVGPRsForWavesPerEU: 7
; NamedBarCnt: 0
; Occupancy: 16
; WaveLimiterHint : 0
; COMPUTE_PGM_RSRC2:SCRATCH_EN: 0
; COMPUTE_PGM_RSRC2:USER_SGPR: 2
; COMPUTE_PGM_RSRC2:TRAP_HANDLER: 0
; COMPUTE_PGM_RSRC2:TGID_X_EN: 1
; COMPUTE_PGM_RSRC2:TGID_Y_EN: 0
; COMPUTE_PGM_RSRC2:TGID_Z_EN: 0
; COMPUTE_PGM_RSRC2:TIDIG_COMP_CNT: 0
	.text
	.protected	_Z9printCutsiPN2rw3CutE ; -- Begin function _Z9printCutsiPN2rw3CutE
	.globl	_Z9printCutsiPN2rw3CutE
	.p2align	8
	.type	_Z9printCutsiPN2rw3CutE,@function
_Z9printCutsiPN2rw3CutE:                ; @_Z9printCutsiPN2rw3CutE
; %bb.0:
	s_clause 0x2
	s_load_b32 s12, s[0:1], 0x0
	s_load_b64 s[2:3], s[0:1], 0x8
	s_load_b64 s[8:9], s[0:1], 0x60
	s_mov_b32 s4, 0
	v_mbcnt_lo_u32_b32 v38, -1, 0
	v_dual_mov_b32 v1, 0 :: v_dual_mov_b32 v4, 33
	s_mov_b32 s6, s4
	s_mov_b32 s7, s4
	;; [unrolled: 1-line block ×3, first 2 shown]
	v_mov_b64_e32 v[10:11], s[6:7]
	v_mov_b64_e32 v[2:3], 0x100000002
	;; [unrolled: 1-line block ×3, first 2 shown]
	s_get_pc_i64 s[10:11]
	s_add_nc_u64 s[10:11], s[10:11], .str.3@rel64+4
	v_dual_mov_b32 v5, v1 :: v_dual_lshlrev_b32 v40, 6, v38
	v_dual_mov_b32 v6, v1 :: v_dual_mov_b32 v7, v1
	s_mov_b32 s24, s4
	s_wait_kmcnt 0x0
	s_lshl_b32 s22, s12, 3
	s_cmp_lg_u64 s[10:11], 0
	s_cselect_b32 s23, -1, 0
	s_branch .LBB11_2
.LBB11_1:                               ;   in Loop: Header=BB11_2 Depth=1
	s_or_b32 exec_lo, exec_lo, s14
	s_add_co_i32 s24, s24, 1
	s_delay_alu instid0(SALU_CYCLE_1)
	s_cmp_eq_u32 s24, 8
	s_cbranch_scc1 .LBB11_343
.LBB11_2:                               ; =>This Loop Header: Depth=1
                                        ;     Child Loop BB11_5 Depth 2
                                        ;     Child Loop BB11_13 Depth 2
	;; [unrolled: 1-line block ×9, first 2 shown]
                                        ;       Child Loop BB11_34 Depth 3
                                        ;       Child Loop BB11_41 Depth 3
	;; [unrolled: 1-line block ×11, first 2 shown]
                                        ;     Child Loop BB11_138 Depth 2
                                        ;     Child Loop BB11_146 Depth 2
	;; [unrolled: 1-line block ×32, first 2 shown]
	s_add_co_i32 s0, s24, s22
	v_mov_b64_e32 v[20:21], 0
	s_ashr_i32 s1, s0, 31
	s_delay_alu instid0(SALU_CYCLE_1) | instskip(NEXT) | instid1(SALU_CYCLE_1)
	s_mul_u64 s[0:1], s[0:1], 28
	s_add_nc_u64 s[0:1], s[2:3], s[0:1]
	s_clause 0x2
	global_load_b32 v39, v1, s[0:1] offset:20
	global_load_u8 v43, v1, s[0:1] offset:24
	global_load_b128 v[12:15], v1, s[0:1] offset:4
	s_wait_xcnt 0x0
	v_readfirstlane_b32 s0, v38
	s_delay_alu instid0(VALU_DEP_1)
	v_cmp_eq_u32_e64 s0, s0, v38
	s_and_saveexec_b32 s1, s0
	s_cbranch_execz .LBB11_8
; %bb.3:                                ;   in Loop: Header=BB11_2 Depth=1
	global_load_b64 v[18:19], v1, s[8:9] offset:24 scope:SCOPE_SYS
	s_wait_loadcnt 0x0
	global_inv scope:SCOPE_SYS
	s_clause 0x1
	global_load_b64 v[16:17], v1, s[8:9] offset:40
	global_load_b64 v[20:21], v1, s[8:9]
	s_mov_b32 s12, exec_lo
	s_wait_loadcnt 0x1
	v_and_b32_e32 v16, v16, v18
	v_and_b32_e32 v17, v17, v19
	s_delay_alu instid0(VALU_DEP_1) | instskip(SKIP_1) | instid1(VALU_DEP_1)
	v_mul_u64_e32 v[16:17], 24, v[16:17]
	s_wait_loadcnt 0x0
	v_add_nc_u64_e32 v[16:17], v[20:21], v[16:17]
	global_load_b64 v[16:17], v[16:17], off scope:SCOPE_SYS
	s_wait_xcnt 0x0
	s_wait_loadcnt 0x0
	global_atomic_cmpswap_b64 v[20:21], v1, v[16:19], s[8:9] offset:24 th:TH_ATOMIC_RETURN scope:SCOPE_SYS
	s_wait_loadcnt 0x0
	global_inv scope:SCOPE_SYS
	s_wait_xcnt 0x0
	v_cmpx_ne_u64_e64 v[20:21], v[18:19]
	s_cbranch_execz .LBB11_7
; %bb.4:                                ;   in Loop: Header=BB11_2 Depth=1
	s_mov_b32 s13, 0
.LBB11_5:                               ;   Parent Loop BB11_2 Depth=1
                                        ; =>  This Inner Loop Header: Depth=2
	s_sleep 1
	s_clause 0x1
	global_load_b64 v[16:17], v1, s[8:9] offset:40
	global_load_b64 v[22:23], v1, s[8:9]
	v_mov_b64_e32 v[18:19], v[20:21]
	s_wait_loadcnt 0x1
	s_delay_alu instid0(VALU_DEP_1) | instskip(SKIP_1) | instid1(VALU_DEP_1)
	v_and_b32_e32 v0, v16, v18
	s_wait_loadcnt 0x0
	v_mad_nc_u64_u32 v[20:21], v0, 24, v[22:23]
	s_delay_alu instid0(VALU_DEP_3) | instskip(NEXT) | instid1(VALU_DEP_1)
	v_and_b32_e32 v0, v17, v19
	v_mad_u32 v21, v0, 24, v21
	global_load_b64 v[16:17], v[20:21], off scope:SCOPE_SYS
	s_wait_xcnt 0x0
	s_wait_loadcnt 0x0
	global_atomic_cmpswap_b64 v[20:21], v1, v[16:19], s[8:9] offset:24 th:TH_ATOMIC_RETURN scope:SCOPE_SYS
	s_wait_loadcnt 0x0
	global_inv scope:SCOPE_SYS
	v_cmp_eq_u64_e32 vcc_lo, v[20:21], v[18:19]
	s_or_b32 s13, vcc_lo, s13
	s_wait_xcnt 0x0
	s_and_not1_b32 exec_lo, exec_lo, s13
	s_cbranch_execnz .LBB11_5
; %bb.6:                                ;   in Loop: Header=BB11_2 Depth=1
	s_or_b32 exec_lo, exec_lo, s13
.LBB11_7:                               ;   in Loop: Header=BB11_2 Depth=1
	s_delay_alu instid0(SALU_CYCLE_1)
	s_or_b32 exec_lo, exec_lo, s12
.LBB11_8:                               ;   in Loop: Header=BB11_2 Depth=1
	s_delay_alu instid0(SALU_CYCLE_1)
	s_or_b32 exec_lo, exec_lo, s1
	s_clause 0x1
	global_load_b64 v[22:23], v1, s[8:9] offset:40
	global_load_b128 v[16:19], v1, s[8:9]
	v_readfirstlane_b32 s12, v20
	v_readfirstlane_b32 s13, v21
	s_mov_b32 s1, exec_lo
	s_wait_loadcnt 0x1
	v_and_b32_e32 v22, s12, v22
	v_and_b32_e32 v23, s13, v23
	s_delay_alu instid0(VALU_DEP_1) | instskip(SKIP_1) | instid1(VALU_DEP_1)
	v_mul_u64_e32 v[20:21], 24, v[22:23]
	s_wait_loadcnt 0x0
	v_add_nc_u64_e32 v[20:21], v[16:17], v[20:21]
	s_wait_xcnt 0x0
	s_and_saveexec_b32 s14, s0
	s_cbranch_execz .LBB11_10
; %bb.9:                                ;   in Loop: Header=BB11_2 Depth=1
	v_mov_b32_e32 v0, s1
	global_store_b128 v[20:21], v[0:3], off offset:8
.LBB11_10:                              ;   in Loop: Header=BB11_2 Depth=1
	s_wait_xcnt 0x0
	s_or_b32 exec_lo, exec_lo, s14
	v_lshlrev_b64_e32 v[22:23], 12, v[22:23]
	s_delay_alu instid0(VALU_DEP_1) | instskip(NEXT) | instid1(VALU_DEP_1)
	v_add_nc_u64_e32 v[22:23], v[18:19], v[22:23]
	v_readfirstlane_b32 s14, v22
	s_delay_alu instid0(VALU_DEP_2)
	v_readfirstlane_b32 s15, v23
	s_clause 0x3
	global_store_b128 v40, v[4:7], s[14:15]
	global_store_b128 v40, v[8:11], s[14:15] offset:16
	global_store_b128 v40, v[8:11], s[14:15] offset:32
	;; [unrolled: 1-line block ×3, first 2 shown]
	s_wait_xcnt 0x0
	s_and_saveexec_b32 s1, s0
	s_cbranch_execz .LBB11_18
; %bb.11:                               ;   in Loop: Header=BB11_2 Depth=1
	s_clause 0x1
	global_load_b64 v[28:29], v1, s[8:9] offset:32 scope:SCOPE_SYS
	global_load_b64 v[18:19], v1, s[8:9] offset:40
	s_mov_b32 s14, exec_lo
	v_dual_mov_b32 v26, s12 :: v_dual_mov_b32 v27, s13
	s_wait_loadcnt 0x0
	v_and_b32_e32 v19, s13, v19
	v_and_b32_e32 v18, s12, v18
	s_delay_alu instid0(VALU_DEP_1) | instskip(NEXT) | instid1(VALU_DEP_1)
	v_mul_u64_e32 v[18:19], 24, v[18:19]
	v_add_nc_u64_e32 v[24:25], v[16:17], v[18:19]
	global_store_b64 v[24:25], v[28:29], off
	global_wb scope:SCOPE_SYS
	s_wait_storecnt 0x0
	s_wait_xcnt 0x0
	global_atomic_cmpswap_b64 v[18:19], v1, v[26:29], s[8:9] offset:32 th:TH_ATOMIC_RETURN scope:SCOPE_SYS
	s_wait_loadcnt 0x0
	s_wait_xcnt 0x0
	v_cmpx_ne_u64_e64 v[18:19], v[28:29]
	s_cbranch_execz .LBB11_14
; %bb.12:                               ;   in Loop: Header=BB11_2 Depth=1
	s_mov_b32 s15, 0
.LBB11_13:                              ;   Parent Loop BB11_2 Depth=1
                                        ; =>  This Inner Loop Header: Depth=2
	v_dual_mov_b32 v16, s12 :: v_dual_mov_b32 v17, s13
	s_sleep 1
	global_store_b64 v[24:25], v[18:19], off
	global_wb scope:SCOPE_SYS
	s_wait_storecnt 0x0
	s_wait_xcnt 0x0
	global_atomic_cmpswap_b64 v[16:17], v1, v[16:19], s[8:9] offset:32 th:TH_ATOMIC_RETURN scope:SCOPE_SYS
	s_wait_loadcnt 0x0
	v_cmp_eq_u64_e32 vcc_lo, v[16:17], v[18:19]
	s_wait_xcnt 0x0
	v_mov_b64_e32 v[18:19], v[16:17]
	s_or_b32 s15, vcc_lo, s15
	s_delay_alu instid0(SALU_CYCLE_1)
	s_and_not1_b32 exec_lo, exec_lo, s15
	s_cbranch_execnz .LBB11_13
.LBB11_14:                              ;   in Loop: Header=BB11_2 Depth=1
	s_or_b32 exec_lo, exec_lo, s14
	global_load_b64 v[16:17], v1, s[8:9] offset:16
	s_mov_b32 s15, exec_lo
	s_mov_b32 s14, exec_lo
	v_mbcnt_lo_u32_b32 v0, s15, 0
	s_wait_xcnt 0x0
	s_delay_alu instid0(VALU_DEP_1)
	v_cmpx_eq_u32_e32 0, v0
	s_cbranch_execz .LBB11_16
; %bb.15:                               ;   in Loop: Header=BB11_2 Depth=1
	s_bcnt1_i32_b32 s15, s15
	s_delay_alu instid0(SALU_CYCLE_1)
	v_mov_b32_e32 v0, s15
	global_wb scope:SCOPE_SYS
	s_wait_loadcnt 0x0
	s_wait_storecnt 0x0
	global_atomic_add_u64 v[16:17], v[0:1], off offset:8 scope:SCOPE_SYS
.LBB11_16:                              ;   in Loop: Header=BB11_2 Depth=1
	s_wait_xcnt 0x0
	s_or_b32 exec_lo, exec_lo, s14
	s_wait_loadcnt 0x0
	global_load_b64 v[18:19], v[16:17], off offset:16
	s_wait_loadcnt 0x0
	v_cmp_eq_u64_e32 vcc_lo, 0, v[18:19]
	s_cbranch_vccnz .LBB11_18
; %bb.17:                               ;   in Loop: Header=BB11_2 Depth=1
	global_load_b32 v0, v[16:17], off offset:24
	s_wait_loadcnt 0x0
	v_readfirstlane_b32 s14, v0
	global_wb scope:SCOPE_SYS
	s_wait_storecnt 0x0
	s_wait_xcnt 0x0
	global_store_b64 v[18:19], v[0:1], off scope:SCOPE_SYS
	s_and_b32 m0, s14, 0xffffff
	s_sendmsg sendmsg(MSG_INTERRUPT)
.LBB11_18:                              ;   in Loop: Header=BB11_2 Depth=1
	s_wait_xcnt 0x0
	s_or_b32 exec_lo, exec_lo, s1
	v_mov_b32_e32 v41, v1
	s_delay_alu instid0(VALU_DEP_1)
	v_add_nc_u64_e32 v[16:17], v[22:23], v[40:41]
	s_branch .LBB11_22
.LBB11_19:                              ;   in Loop: Header=BB11_22 Depth=2
	s_wait_xcnt 0x0
	s_or_b32 exec_lo, exec_lo, s1
	s_delay_alu instid0(VALU_DEP_1)
	v_readfirstlane_b32 s1, v0
	s_cmp_eq_u32 s1, 0
	s_cbranch_scc1 .LBB11_21
; %bb.20:                               ;   in Loop: Header=BB11_22 Depth=2
	s_sleep 1
	s_cbranch_execnz .LBB11_22
	s_branch .LBB11_24
.LBB11_21:                              ;   in Loop: Header=BB11_2 Depth=1
	s_branch .LBB11_24
.LBB11_22:                              ;   Parent Loop BB11_2 Depth=1
                                        ; =>  This Inner Loop Header: Depth=2
	v_mov_b32_e32 v0, 1
	s_and_saveexec_b32 s1, s0
	s_cbranch_execz .LBB11_19
; %bb.23:                               ;   in Loop: Header=BB11_22 Depth=2
	global_load_b32 v0, v[20:21], off offset:20 scope:SCOPE_SYS
	s_wait_loadcnt 0x0
	global_inv scope:SCOPE_SYS
	v_and_b32_e32 v0, 1, v0
	s_branch .LBB11_19
.LBB11_24:                              ;   in Loop: Header=BB11_2 Depth=1
	global_load_b64 v[16:17], v[16:17], off
	s_wait_xcnt 0x0
	s_and_saveexec_b32 s14, s0
	s_cbranch_execz .LBB11_28
; %bb.25:                               ;   in Loop: Header=BB11_2 Depth=1
	s_clause 0x2
	global_load_b64 v[18:19], v1, s[8:9] offset:40
	global_load_b64 v[26:27], v1, s[8:9] offset:24 scope:SCOPE_SYS
	global_load_b64 v[20:21], v1, s[8:9]
	s_wait_loadcnt 0x2
	v_readfirstlane_b32 s16, v18
	v_readfirstlane_b32 s17, v19
	s_add_nc_u64 s[0:1], s[16:17], 1
	s_delay_alu instid0(SALU_CYCLE_1) | instskip(NEXT) | instid1(SALU_CYCLE_1)
	s_add_nc_u64 s[12:13], s[0:1], s[12:13]
	s_cmp_eq_u64 s[12:13], 0
	s_cselect_b32 s1, s1, s13
	s_cselect_b32 s0, s0, s12
	s_delay_alu instid0(SALU_CYCLE_1) | instskip(SKIP_1) | instid1(SALU_CYCLE_1)
	v_dual_mov_b32 v25, s1 :: v_dual_mov_b32 v24, s0
	s_and_b64 s[12:13], s[0:1], s[16:17]
	s_mul_u64 s[12:13], s[12:13], 24
	s_wait_loadcnt 0x0
	v_add_nc_u64_e32 v[22:23], s[12:13], v[20:21]
	global_store_b64 v[22:23], v[26:27], off
	global_wb scope:SCOPE_SYS
	s_wait_storecnt 0x0
	s_wait_xcnt 0x0
	global_atomic_cmpswap_b64 v[20:21], v1, v[24:27], s[8:9] offset:24 th:TH_ATOMIC_RETURN scope:SCOPE_SYS
	s_wait_loadcnt 0x0
	v_cmp_ne_u64_e32 vcc_lo, v[20:21], v[26:27]
	s_wait_xcnt 0x0
	s_and_b32 exec_lo, exec_lo, vcc_lo
	s_cbranch_execz .LBB11_28
; %bb.26:                               ;   in Loop: Header=BB11_2 Depth=1
	s_mov_b32 s12, 0
.LBB11_27:                              ;   Parent Loop BB11_2 Depth=1
                                        ; =>  This Inner Loop Header: Depth=2
	v_dual_mov_b32 v18, s0 :: v_dual_mov_b32 v19, s1
	s_sleep 1
	global_store_b64 v[22:23], v[20:21], off
	global_wb scope:SCOPE_SYS
	s_wait_storecnt 0x0
	s_wait_xcnt 0x0
	global_atomic_cmpswap_b64 v[18:19], v1, v[18:21], s[8:9] offset:24 th:TH_ATOMIC_RETURN scope:SCOPE_SYS
	s_wait_loadcnt 0x0
	v_cmp_eq_u64_e32 vcc_lo, v[18:19], v[20:21]
	s_wait_xcnt 0x0
	v_mov_b64_e32 v[20:21], v[18:19]
	s_or_b32 s12, vcc_lo, s12
	s_delay_alu instid0(SALU_CYCLE_1)
	s_and_not1_b32 exec_lo, exec_lo, s12
	s_cbranch_execnz .LBB11_27
.LBB11_28:                              ;   in Loop: Header=BB11_2 Depth=1
	s_or_b32 exec_lo, exec_lo, s14
	s_delay_alu instid0(SALU_CYCLE_1)
	s_and_b32 vcc_lo, exec_lo, s23
	s_cbranch_vccz .LBB11_107
; %bb.29:                               ;   in Loop: Header=BB11_2 Depth=1
	s_wait_loadcnt 0x0
	v_dual_mov_b32 v19, v17 :: v_dual_bitop2_b32 v42, 2, v16 bitop3:0x40
	v_and_b32_e32 v18, -3, v16
	s_mov_b64 s[12:13], 0x47
	s_mov_b64 s[14:15], s[10:11]
	s_branch .LBB11_31
.LBB11_30:                              ;   in Loop: Header=BB11_31 Depth=2
	s_or_b32 exec_lo, exec_lo, s20
	s_sub_nc_u64 s[12:13], s[12:13], s[16:17]
	s_add_nc_u64 s[14:15], s[14:15], s[16:17]
	s_cmp_lg_u64 s[12:13], 0
	s_cbranch_scc0 .LBB11_106
.LBB11_31:                              ;   Parent Loop BB11_2 Depth=1
                                        ; =>  This Loop Header: Depth=2
                                        ;       Child Loop BB11_34 Depth 3
                                        ;       Child Loop BB11_41 Depth 3
	;; [unrolled: 1-line block ×11, first 2 shown]
	v_min_u64 v[20:21], s[12:13], 56
	v_cmp_gt_u64_e64 s0, s[12:13], 7
	s_and_b32 vcc_lo, exec_lo, s0
	v_readfirstlane_b32 s16, v20
	v_readfirstlane_b32 s17, v21
	s_cbranch_vccnz .LBB11_36
; %bb.32:                               ;   in Loop: Header=BB11_31 Depth=2
	v_mov_b64_e32 v[20:21], 0
	s_cmp_eq_u64 s[12:13], 0
	s_cbranch_scc1 .LBB11_35
; %bb.33:                               ;   in Loop: Header=BB11_31 Depth=2
	s_mov_b64 s[0:1], 0
	s_mov_b64 s[18:19], 0
.LBB11_34:                              ;   Parent Loop BB11_2 Depth=1
                                        ;     Parent Loop BB11_31 Depth=2
                                        ; =>    This Inner Loop Header: Depth=3
	s_wait_xcnt 0x0
	s_add_nc_u64 s[20:21], s[14:15], s[18:19]
	s_add_nc_u64 s[18:19], s[18:19], 1
	global_load_u8 v0, v1, s[20:21]
	s_cmp_lg_u32 s16, s18
	s_wait_loadcnt 0x0
	v_and_b32_e32 v0, 0xffff, v0
	s_delay_alu instid0(VALU_DEP_1) | instskip(SKIP_1) | instid1(VALU_DEP_1)
	v_lshlrev_b64_e32 v[22:23], s0, v[0:1]
	s_add_nc_u64 s[0:1], s[0:1], 8
	v_or_b32_e32 v20, v22, v20
	s_delay_alu instid0(VALU_DEP_2)
	v_or_b32_e32 v21, v23, v21
	s_cbranch_scc1 .LBB11_34
.LBB11_35:                              ;   in Loop: Header=BB11_31 Depth=2
	s_mov_b64 s[0:1], s[14:15]
	s_mov_b32 s25, 0
	s_cbranch_execz .LBB11_37
	s_branch .LBB11_38
.LBB11_36:                              ;   in Loop: Header=BB11_31 Depth=2
	s_add_nc_u64 s[0:1], s[14:15], 8
	s_mov_b32 s25, 0
.LBB11_37:                              ;   in Loop: Header=BB11_31 Depth=2
	global_load_b64 v[20:21], v1, s[14:15]
	s_add_co_i32 s25, s16, -8
.LBB11_38:                              ;   in Loop: Header=BB11_31 Depth=2
	s_delay_alu instid0(SALU_CYCLE_1)
	s_cmp_gt_u32 s25, 7
	s_cbranch_scc1 .LBB11_43
; %bb.39:                               ;   in Loop: Header=BB11_31 Depth=2
	v_mov_b64_e32 v[22:23], 0
	s_cmp_eq_u32 s25, 0
	s_cbranch_scc1 .LBB11_42
; %bb.40:                               ;   in Loop: Header=BB11_31 Depth=2
	s_mov_b64 s[18:19], 0
	s_wait_xcnt 0x0
	s_mov_b64 s[20:21], 0
.LBB11_41:                              ;   Parent Loop BB11_2 Depth=1
                                        ;     Parent Loop BB11_31 Depth=2
                                        ; =>    This Inner Loop Header: Depth=3
	s_wait_xcnt 0x0
	s_add_nc_u64 s[26:27], s[0:1], s[20:21]
	s_add_nc_u64 s[20:21], s[20:21], 1
	global_load_u8 v0, v1, s[26:27]
	s_cmp_lg_u32 s25, s20
	s_wait_loadcnt 0x0
	v_and_b32_e32 v0, 0xffff, v0
	s_delay_alu instid0(VALU_DEP_1) | instskip(SKIP_1) | instid1(VALU_DEP_1)
	v_lshlrev_b64_e32 v[24:25], s18, v[0:1]
	s_add_nc_u64 s[18:19], s[18:19], 8
	v_or_b32_e32 v22, v24, v22
	s_delay_alu instid0(VALU_DEP_2)
	v_or_b32_e32 v23, v25, v23
	s_cbranch_scc1 .LBB11_41
.LBB11_42:                              ;   in Loop: Header=BB11_31 Depth=2
	s_wait_xcnt 0x0
	s_mov_b64 s[18:19], s[0:1]
	s_mov_b32 s26, 0
	s_cbranch_execz .LBB11_44
	s_branch .LBB11_45
.LBB11_43:                              ;   in Loop: Header=BB11_31 Depth=2
	s_add_nc_u64 s[18:19], s[0:1], 8
	s_wait_xcnt 0x0
                                        ; implicit-def: $vgpr22_vgpr23
	s_mov_b32 s26, 0
.LBB11_44:                              ;   in Loop: Header=BB11_31 Depth=2
	global_load_b64 v[22:23], v1, s[0:1]
	s_add_co_i32 s26, s25, -8
.LBB11_45:                              ;   in Loop: Header=BB11_31 Depth=2
	s_delay_alu instid0(SALU_CYCLE_1)
	s_cmp_gt_u32 s26, 7
	s_cbranch_scc1 .LBB11_50
; %bb.46:                               ;   in Loop: Header=BB11_31 Depth=2
	v_mov_b64_e32 v[24:25], 0
	s_cmp_eq_u32 s26, 0
	s_cbranch_scc1 .LBB11_49
; %bb.47:                               ;   in Loop: Header=BB11_31 Depth=2
	s_wait_xcnt 0x0
	s_mov_b64 s[0:1], 0
	s_mov_b64 s[20:21], 0
.LBB11_48:                              ;   Parent Loop BB11_2 Depth=1
                                        ;     Parent Loop BB11_31 Depth=2
                                        ; =>    This Inner Loop Header: Depth=3
	s_wait_xcnt 0x0
	s_add_nc_u64 s[28:29], s[18:19], s[20:21]
	s_add_nc_u64 s[20:21], s[20:21], 1
	global_load_u8 v0, v1, s[28:29]
	s_cmp_lg_u32 s26, s20
	s_wait_loadcnt 0x0
	v_and_b32_e32 v0, 0xffff, v0
	s_delay_alu instid0(VALU_DEP_1) | instskip(SKIP_1) | instid1(VALU_DEP_1)
	v_lshlrev_b64_e32 v[26:27], s0, v[0:1]
	s_add_nc_u64 s[0:1], s[0:1], 8
	v_or_b32_e32 v24, v26, v24
	s_delay_alu instid0(VALU_DEP_2)
	v_or_b32_e32 v25, v27, v25
	s_cbranch_scc1 .LBB11_48
.LBB11_49:                              ;   in Loop: Header=BB11_31 Depth=2
	s_wait_xcnt 0x0
	s_mov_b64 s[0:1], s[18:19]
	s_mov_b32 s25, 0
	s_cbranch_execz .LBB11_51
	s_branch .LBB11_52
.LBB11_50:                              ;   in Loop: Header=BB11_31 Depth=2
	s_wait_xcnt 0x0
	s_add_nc_u64 s[0:1], s[18:19], 8
	s_mov_b32 s25, 0
.LBB11_51:                              ;   in Loop: Header=BB11_31 Depth=2
	global_load_b64 v[24:25], v1, s[18:19]
	s_add_co_i32 s25, s26, -8
.LBB11_52:                              ;   in Loop: Header=BB11_31 Depth=2
	s_delay_alu instid0(SALU_CYCLE_1)
	s_cmp_gt_u32 s25, 7
	s_cbranch_scc1 .LBB11_57
; %bb.53:                               ;   in Loop: Header=BB11_31 Depth=2
	v_mov_b64_e32 v[26:27], 0
	s_cmp_eq_u32 s25, 0
	s_cbranch_scc1 .LBB11_56
; %bb.54:                               ;   in Loop: Header=BB11_31 Depth=2
	s_wait_xcnt 0x0
	s_mov_b64 s[18:19], 0
	s_mov_b64 s[20:21], 0
.LBB11_55:                              ;   Parent Loop BB11_2 Depth=1
                                        ;     Parent Loop BB11_31 Depth=2
                                        ; =>    This Inner Loop Header: Depth=3
	s_wait_xcnt 0x0
	s_add_nc_u64 s[26:27], s[0:1], s[20:21]
	s_add_nc_u64 s[20:21], s[20:21], 1
	global_load_u8 v0, v1, s[26:27]
	s_cmp_lg_u32 s25, s20
	s_wait_loadcnt 0x0
	v_and_b32_e32 v0, 0xffff, v0
	s_delay_alu instid0(VALU_DEP_1) | instskip(SKIP_1) | instid1(VALU_DEP_1)
	v_lshlrev_b64_e32 v[28:29], s18, v[0:1]
	s_add_nc_u64 s[18:19], s[18:19], 8
	v_or_b32_e32 v26, v28, v26
	s_delay_alu instid0(VALU_DEP_2)
	v_or_b32_e32 v27, v29, v27
	s_cbranch_scc1 .LBB11_55
.LBB11_56:                              ;   in Loop: Header=BB11_31 Depth=2
	s_wait_xcnt 0x0
	s_mov_b64 s[18:19], s[0:1]
	s_mov_b32 s26, 0
	s_cbranch_execz .LBB11_58
	s_branch .LBB11_59
.LBB11_57:                              ;   in Loop: Header=BB11_31 Depth=2
	s_wait_xcnt 0x0
	s_add_nc_u64 s[18:19], s[0:1], 8
                                        ; implicit-def: $vgpr26_vgpr27
	s_mov_b32 s26, 0
.LBB11_58:                              ;   in Loop: Header=BB11_31 Depth=2
	global_load_b64 v[26:27], v1, s[0:1]
	s_add_co_i32 s26, s25, -8
.LBB11_59:                              ;   in Loop: Header=BB11_31 Depth=2
	s_delay_alu instid0(SALU_CYCLE_1)
	s_cmp_gt_u32 s26, 7
	s_cbranch_scc1 .LBB11_64
; %bb.60:                               ;   in Loop: Header=BB11_31 Depth=2
	v_mov_b64_e32 v[28:29], 0
	s_cmp_eq_u32 s26, 0
	s_cbranch_scc1 .LBB11_63
; %bb.61:                               ;   in Loop: Header=BB11_31 Depth=2
	s_wait_xcnt 0x0
	s_mov_b64 s[0:1], 0
	s_mov_b64 s[20:21], 0
.LBB11_62:                              ;   Parent Loop BB11_2 Depth=1
                                        ;     Parent Loop BB11_31 Depth=2
                                        ; =>    This Inner Loop Header: Depth=3
	s_wait_xcnt 0x0
	s_add_nc_u64 s[28:29], s[18:19], s[20:21]
	s_add_nc_u64 s[20:21], s[20:21], 1
	global_load_u8 v0, v1, s[28:29]
	s_cmp_lg_u32 s26, s20
	s_wait_loadcnt 0x0
	v_and_b32_e32 v0, 0xffff, v0
	s_delay_alu instid0(VALU_DEP_1) | instskip(SKIP_1) | instid1(VALU_DEP_1)
	v_lshlrev_b64_e32 v[30:31], s0, v[0:1]
	s_add_nc_u64 s[0:1], s[0:1], 8
	v_or_b32_e32 v28, v30, v28
	s_delay_alu instid0(VALU_DEP_2)
	v_or_b32_e32 v29, v31, v29
	s_cbranch_scc1 .LBB11_62
.LBB11_63:                              ;   in Loop: Header=BB11_31 Depth=2
	s_wait_xcnt 0x0
	s_mov_b64 s[0:1], s[18:19]
	s_mov_b32 s25, 0
	s_cbranch_execz .LBB11_65
	s_branch .LBB11_66
.LBB11_64:                              ;   in Loop: Header=BB11_31 Depth=2
	s_wait_xcnt 0x0
	s_add_nc_u64 s[0:1], s[18:19], 8
	s_mov_b32 s25, 0
.LBB11_65:                              ;   in Loop: Header=BB11_31 Depth=2
	global_load_b64 v[28:29], v1, s[18:19]
	s_add_co_i32 s25, s26, -8
.LBB11_66:                              ;   in Loop: Header=BB11_31 Depth=2
	s_delay_alu instid0(SALU_CYCLE_1)
	s_cmp_gt_u32 s25, 7
	s_cbranch_scc1 .LBB11_71
; %bb.67:                               ;   in Loop: Header=BB11_31 Depth=2
	v_mov_b64_e32 v[30:31], 0
	s_cmp_eq_u32 s25, 0
	s_cbranch_scc1 .LBB11_70
; %bb.68:                               ;   in Loop: Header=BB11_31 Depth=2
	s_wait_xcnt 0x0
	s_mov_b64 s[18:19], 0
	s_mov_b64 s[20:21], 0
.LBB11_69:                              ;   Parent Loop BB11_2 Depth=1
                                        ;     Parent Loop BB11_31 Depth=2
                                        ; =>    This Inner Loop Header: Depth=3
	s_wait_xcnt 0x0
	s_add_nc_u64 s[26:27], s[0:1], s[20:21]
	s_add_nc_u64 s[20:21], s[20:21], 1
	global_load_u8 v0, v1, s[26:27]
	s_cmp_lg_u32 s25, s20
	s_wait_loadcnt 0x0
	v_and_b32_e32 v0, 0xffff, v0
	s_delay_alu instid0(VALU_DEP_1) | instskip(SKIP_1) | instid1(VALU_DEP_1)
	v_lshlrev_b64_e32 v[32:33], s18, v[0:1]
	s_add_nc_u64 s[18:19], s[18:19], 8
	v_or_b32_e32 v30, v32, v30
	s_delay_alu instid0(VALU_DEP_2)
	v_or_b32_e32 v31, v33, v31
	s_cbranch_scc1 .LBB11_69
.LBB11_70:                              ;   in Loop: Header=BB11_31 Depth=2
	s_wait_xcnt 0x0
	s_mov_b64 s[18:19], s[0:1]
	s_mov_b32 s26, 0
	s_cbranch_execz .LBB11_72
	s_branch .LBB11_73
.LBB11_71:                              ;   in Loop: Header=BB11_31 Depth=2
	s_wait_xcnt 0x0
	s_add_nc_u64 s[18:19], s[0:1], 8
                                        ; implicit-def: $vgpr30_vgpr31
	s_mov_b32 s26, 0
.LBB11_72:                              ;   in Loop: Header=BB11_31 Depth=2
	global_load_b64 v[30:31], v1, s[0:1]
	s_add_co_i32 s26, s25, -8
.LBB11_73:                              ;   in Loop: Header=BB11_31 Depth=2
	s_delay_alu instid0(SALU_CYCLE_1)
	s_cmp_gt_u32 s26, 7
	s_cbranch_scc1 .LBB11_78
; %bb.74:                               ;   in Loop: Header=BB11_31 Depth=2
	v_mov_b64_e32 v[32:33], 0
	s_cmp_eq_u32 s26, 0
	s_cbranch_scc1 .LBB11_77
; %bb.75:                               ;   in Loop: Header=BB11_31 Depth=2
	s_wait_xcnt 0x0
	s_mov_b64 s[0:1], 0
	s_mov_b64 s[20:21], s[18:19]
.LBB11_76:                              ;   Parent Loop BB11_2 Depth=1
                                        ;     Parent Loop BB11_31 Depth=2
                                        ; =>    This Inner Loop Header: Depth=3
	global_load_u8 v0, v1, s[20:21]
	s_add_co_i32 s26, s26, -1
	s_wait_xcnt 0x0
	s_add_nc_u64 s[20:21], s[20:21], 1
	s_cmp_lg_u32 s26, 0
	s_wait_loadcnt 0x0
	v_and_b32_e32 v0, 0xffff, v0
	s_delay_alu instid0(VALU_DEP_1) | instskip(SKIP_1) | instid1(VALU_DEP_1)
	v_lshlrev_b64_e32 v[34:35], s0, v[0:1]
	s_add_nc_u64 s[0:1], s[0:1], 8
	v_or_b32_e32 v32, v34, v32
	s_delay_alu instid0(VALU_DEP_2)
	v_or_b32_e32 v33, v35, v33
	s_cbranch_scc1 .LBB11_76
.LBB11_77:                              ;   in Loop: Header=BB11_31 Depth=2
	s_wait_xcnt 0x0
	s_cbranch_execz .LBB11_79
	s_branch .LBB11_80
.LBB11_78:                              ;   in Loop: Header=BB11_31 Depth=2
	s_wait_xcnt 0x0
.LBB11_79:                              ;   in Loop: Header=BB11_31 Depth=2
	global_load_b64 v[32:33], v1, s[18:19]
.LBB11_80:                              ;   in Loop: Header=BB11_31 Depth=2
	v_readfirstlane_b32 s0, v38
	v_mov_b64_e32 v[44:45], 0
	s_delay_alu instid0(VALU_DEP_2)
	v_cmp_eq_u32_e64 s0, s0, v38
	s_wait_xcnt 0x0
	s_and_saveexec_b32 s1, s0
	s_cbranch_execz .LBB11_86
; %bb.81:                               ;   in Loop: Header=BB11_31 Depth=2
	global_load_b64 v[36:37], v1, s[8:9] offset:24 scope:SCOPE_SYS
	s_wait_loadcnt 0x0
	global_inv scope:SCOPE_SYS
	s_clause 0x1
	global_load_b64 v[34:35], v1, s[8:9] offset:40
	global_load_b64 v[44:45], v1, s[8:9]
	s_mov_b32 s18, exec_lo
	s_wait_loadcnt 0x1
	v_and_b32_e32 v34, v34, v36
	v_and_b32_e32 v35, v35, v37
	s_delay_alu instid0(VALU_DEP_1) | instskip(SKIP_1) | instid1(VALU_DEP_1)
	v_mul_u64_e32 v[34:35], 24, v[34:35]
	s_wait_loadcnt 0x0
	v_add_nc_u64_e32 v[34:35], v[44:45], v[34:35]
	global_load_b64 v[34:35], v[34:35], off scope:SCOPE_SYS
	s_wait_xcnt 0x0
	s_wait_loadcnt 0x0
	global_atomic_cmpswap_b64 v[44:45], v1, v[34:37], s[8:9] offset:24 th:TH_ATOMIC_RETURN scope:SCOPE_SYS
	s_wait_loadcnt 0x0
	global_inv scope:SCOPE_SYS
	s_wait_xcnt 0x0
	v_cmpx_ne_u64_e64 v[44:45], v[36:37]
	s_cbranch_execz .LBB11_85
; %bb.82:                               ;   in Loop: Header=BB11_31 Depth=2
	s_mov_b32 s19, 0
.LBB11_83:                              ;   Parent Loop BB11_2 Depth=1
                                        ;     Parent Loop BB11_31 Depth=2
                                        ; =>    This Inner Loop Header: Depth=3
	s_sleep 1
	s_clause 0x1
	global_load_b64 v[34:35], v1, s[8:9] offset:40
	global_load_b64 v[46:47], v1, s[8:9]
	v_mov_b64_e32 v[36:37], v[44:45]
	s_wait_loadcnt 0x1
	s_delay_alu instid0(VALU_DEP_1) | instskip(SKIP_1) | instid1(VALU_DEP_1)
	v_and_b32_e32 v0, v34, v36
	s_wait_loadcnt 0x0
	v_mad_nc_u64_u32 v[44:45], v0, 24, v[46:47]
	s_delay_alu instid0(VALU_DEP_3) | instskip(NEXT) | instid1(VALU_DEP_1)
	v_and_b32_e32 v0, v35, v37
	v_mad_u32 v45, v0, 24, v45
	global_load_b64 v[34:35], v[44:45], off scope:SCOPE_SYS
	s_wait_xcnt 0x0
	s_wait_loadcnt 0x0
	global_atomic_cmpswap_b64 v[44:45], v1, v[34:37], s[8:9] offset:24 th:TH_ATOMIC_RETURN scope:SCOPE_SYS
	s_wait_loadcnt 0x0
	global_inv scope:SCOPE_SYS
	v_cmp_eq_u64_e32 vcc_lo, v[44:45], v[36:37]
	s_or_b32 s19, vcc_lo, s19
	s_wait_xcnt 0x0
	s_and_not1_b32 exec_lo, exec_lo, s19
	s_cbranch_execnz .LBB11_83
; %bb.84:                               ;   in Loop: Header=BB11_31 Depth=2
	s_or_b32 exec_lo, exec_lo, s19
.LBB11_85:                              ;   in Loop: Header=BB11_31 Depth=2
	s_delay_alu instid0(SALU_CYCLE_1)
	s_or_b32 exec_lo, exec_lo, s18
.LBB11_86:                              ;   in Loop: Header=BB11_31 Depth=2
	s_delay_alu instid0(SALU_CYCLE_1)
	s_or_b32 exec_lo, exec_lo, s1
	s_clause 0x1
	global_load_b64 v[46:47], v1, s[8:9] offset:40
	global_load_b128 v[34:37], v1, s[8:9]
	v_readfirstlane_b32 s18, v44
	v_readfirstlane_b32 s19, v45
	s_mov_b32 s1, exec_lo
	s_wait_loadcnt 0x1
	v_and_b32_e32 v46, s18, v46
	v_and_b32_e32 v47, s19, v47
	s_delay_alu instid0(VALU_DEP_1) | instskip(SKIP_1) | instid1(VALU_DEP_1)
	v_mul_u64_e32 v[44:45], 24, v[46:47]
	s_wait_loadcnt 0x0
	v_add_nc_u64_e32 v[44:45], v[34:35], v[44:45]
	s_wait_xcnt 0x0
	s_and_saveexec_b32 s20, s0
	s_cbranch_execz .LBB11_88
; %bb.87:                               ;   in Loop: Header=BB11_31 Depth=2
	v_mov_b32_e32 v0, s1
	global_store_b128 v[44:45], v[0:3], off offset:8
.LBB11_88:                              ;   in Loop: Header=BB11_31 Depth=2
	s_wait_xcnt 0x0
	s_or_b32 exec_lo, exec_lo, s20
	v_cmp_lt_u64_e64 vcc_lo, s[12:13], 57
	v_lshlrev_b64_e32 v[46:47], 12, v[46:47]
	v_and_b32_e32 v18, 0xffffff1f, v18
	s_lshl_b32 s1, s16, 2
	s_delay_alu instid0(SALU_CYCLE_1) | instskip(SKIP_1) | instid1(VALU_DEP_3)
	s_add_co_i32 s1, s1, 28
	v_cndmask_b32_e32 v0, 0, v42, vcc_lo
	v_add_nc_u64_e32 v[36:37], v[36:37], v[46:47]
	s_delay_alu instid0(VALU_DEP_2) | instskip(NEXT) | instid1(VALU_DEP_2)
	v_or_b32_e32 v0, v18, v0
	v_readfirstlane_b32 s20, v36
	s_delay_alu instid0(VALU_DEP_3) | instskip(NEXT) | instid1(VALU_DEP_3)
	v_readfirstlane_b32 s21, v37
	v_and_or_b32 v18, 0x1e0, s1, v0
	s_clause 0x3
	global_store_b128 v40, v[18:21], s[20:21]
	global_store_b128 v40, v[22:25], s[20:21] offset:16
	global_store_b128 v40, v[26:29], s[20:21] offset:32
	global_store_b128 v40, v[30:33], s[20:21] offset:48
	s_wait_xcnt 0x0
	s_and_saveexec_b32 s1, s0
	s_cbranch_execz .LBB11_96
; %bb.89:                               ;   in Loop: Header=BB11_31 Depth=2
	s_clause 0x1
	global_load_b64 v[26:27], v1, s[8:9] offset:32 scope:SCOPE_SYS
	global_load_b64 v[18:19], v1, s[8:9] offset:40
	s_mov_b32 s20, exec_lo
	v_dual_mov_b32 v24, s18 :: v_dual_mov_b32 v25, s19
	s_wait_loadcnt 0x0
	v_and_b32_e32 v19, s19, v19
	v_and_b32_e32 v18, s18, v18
	s_delay_alu instid0(VALU_DEP_1) | instskip(NEXT) | instid1(VALU_DEP_1)
	v_mul_u64_e32 v[18:19], 24, v[18:19]
	v_add_nc_u64_e32 v[22:23], v[34:35], v[18:19]
	global_store_b64 v[22:23], v[26:27], off
	global_wb scope:SCOPE_SYS
	s_wait_storecnt 0x0
	s_wait_xcnt 0x0
	global_atomic_cmpswap_b64 v[20:21], v1, v[24:27], s[8:9] offset:32 th:TH_ATOMIC_RETURN scope:SCOPE_SYS
	s_wait_loadcnt 0x0
	s_wait_xcnt 0x0
	v_cmpx_ne_u64_e64 v[20:21], v[26:27]
	s_cbranch_execz .LBB11_92
; %bb.90:                               ;   in Loop: Header=BB11_31 Depth=2
	s_mov_b32 s21, 0
.LBB11_91:                              ;   Parent Loop BB11_2 Depth=1
                                        ;     Parent Loop BB11_31 Depth=2
                                        ; =>    This Inner Loop Header: Depth=3
	v_dual_mov_b32 v18, s18 :: v_dual_mov_b32 v19, s19
	s_sleep 1
	global_store_b64 v[22:23], v[20:21], off
	global_wb scope:SCOPE_SYS
	s_wait_storecnt 0x0
	s_wait_xcnt 0x0
	global_atomic_cmpswap_b64 v[18:19], v1, v[18:21], s[8:9] offset:32 th:TH_ATOMIC_RETURN scope:SCOPE_SYS
	s_wait_loadcnt 0x0
	v_cmp_eq_u64_e32 vcc_lo, v[18:19], v[20:21]
	s_wait_xcnt 0x0
	v_mov_b64_e32 v[20:21], v[18:19]
	s_or_b32 s21, vcc_lo, s21
	s_delay_alu instid0(SALU_CYCLE_1)
	s_and_not1_b32 exec_lo, exec_lo, s21
	s_cbranch_execnz .LBB11_91
.LBB11_92:                              ;   in Loop: Header=BB11_31 Depth=2
	s_or_b32 exec_lo, exec_lo, s20
	global_load_b64 v[18:19], v1, s[8:9] offset:16
	s_mov_b32 s21, exec_lo
	s_mov_b32 s20, exec_lo
	v_mbcnt_lo_u32_b32 v0, s21, 0
	s_wait_xcnt 0x0
	s_delay_alu instid0(VALU_DEP_1)
	v_cmpx_eq_u32_e32 0, v0
	s_cbranch_execz .LBB11_94
; %bb.93:                               ;   in Loop: Header=BB11_31 Depth=2
	s_bcnt1_i32_b32 s21, s21
	s_delay_alu instid0(SALU_CYCLE_1)
	v_mov_b32_e32 v0, s21
	global_wb scope:SCOPE_SYS
	s_wait_loadcnt 0x0
	s_wait_storecnt 0x0
	global_atomic_add_u64 v[18:19], v[0:1], off offset:8 scope:SCOPE_SYS
.LBB11_94:                              ;   in Loop: Header=BB11_31 Depth=2
	s_wait_xcnt 0x0
	s_or_b32 exec_lo, exec_lo, s20
	s_wait_loadcnt 0x0
	global_load_b64 v[20:21], v[18:19], off offset:16
	s_wait_loadcnt 0x0
	v_cmp_eq_u64_e32 vcc_lo, 0, v[20:21]
	s_cbranch_vccnz .LBB11_96
; %bb.95:                               ;   in Loop: Header=BB11_31 Depth=2
	global_load_b32 v0, v[18:19], off offset:24
	s_wait_loadcnt 0x0
	v_readfirstlane_b32 s20, v0
	global_wb scope:SCOPE_SYS
	s_wait_storecnt 0x0
	s_wait_xcnt 0x0
	global_store_b64 v[20:21], v[0:1], off scope:SCOPE_SYS
	s_and_b32 m0, s20, 0xffffff
	s_sendmsg sendmsg(MSG_INTERRUPT)
.LBB11_96:                              ;   in Loop: Header=BB11_31 Depth=2
	s_wait_xcnt 0x0
	s_or_b32 exec_lo, exec_lo, s1
	v_mov_b32_e32 v41, v1
	s_delay_alu instid0(VALU_DEP_1)
	v_add_nc_u64_e32 v[18:19], v[36:37], v[40:41]
	s_branch .LBB11_100
.LBB11_97:                              ;   in Loop: Header=BB11_100 Depth=3
	s_wait_xcnt 0x0
	s_or_b32 exec_lo, exec_lo, s1
	s_delay_alu instid0(VALU_DEP_1)
	v_readfirstlane_b32 s1, v0
	s_cmp_eq_u32 s1, 0
	s_cbranch_scc1 .LBB11_99
; %bb.98:                               ;   in Loop: Header=BB11_100 Depth=3
	s_sleep 1
	s_cbranch_execnz .LBB11_100
	s_branch .LBB11_102
.LBB11_99:                              ;   in Loop: Header=BB11_31 Depth=2
	s_branch .LBB11_102
.LBB11_100:                             ;   Parent Loop BB11_2 Depth=1
                                        ;     Parent Loop BB11_31 Depth=2
                                        ; =>    This Inner Loop Header: Depth=3
	v_mov_b32_e32 v0, 1
	s_and_saveexec_b32 s1, s0
	s_cbranch_execz .LBB11_97
; %bb.101:                              ;   in Loop: Header=BB11_100 Depth=3
	global_load_b32 v0, v[44:45], off offset:20 scope:SCOPE_SYS
	s_wait_loadcnt 0x0
	global_inv scope:SCOPE_SYS
	v_and_b32_e32 v0, 1, v0
	s_branch .LBB11_97
.LBB11_102:                             ;   in Loop: Header=BB11_31 Depth=2
	global_load_b64 v[18:19], v[18:19], off
	s_wait_xcnt 0x0
	s_and_saveexec_b32 s20, s0
	s_cbranch_execz .LBB11_30
; %bb.103:                              ;   in Loop: Header=BB11_31 Depth=2
	s_clause 0x2
	global_load_b64 v[20:21], v1, s[8:9] offset:40
	global_load_b64 v[28:29], v1, s[8:9] offset:24 scope:SCOPE_SYS
	global_load_b64 v[22:23], v1, s[8:9]
	s_wait_loadcnt 0x2
	v_readfirstlane_b32 s26, v20
	v_readfirstlane_b32 s27, v21
	s_add_nc_u64 s[0:1], s[26:27], 1
	s_delay_alu instid0(SALU_CYCLE_1) | instskip(NEXT) | instid1(SALU_CYCLE_1)
	s_add_nc_u64 s[18:19], s[0:1], s[18:19]
	s_cmp_eq_u64 s[18:19], 0
	s_cselect_b32 s1, s1, s19
	s_cselect_b32 s0, s0, s18
	s_delay_alu instid0(SALU_CYCLE_1) | instskip(SKIP_1) | instid1(SALU_CYCLE_1)
	v_dual_mov_b32 v27, s1 :: v_dual_mov_b32 v26, s0
	s_and_b64 s[18:19], s[0:1], s[26:27]
	s_mul_u64 s[18:19], s[18:19], 24
	s_wait_loadcnt 0x0
	v_add_nc_u64_e32 v[24:25], s[18:19], v[22:23]
	global_store_b64 v[24:25], v[28:29], off
	global_wb scope:SCOPE_SYS
	s_wait_storecnt 0x0
	s_wait_xcnt 0x0
	global_atomic_cmpswap_b64 v[22:23], v1, v[26:29], s[8:9] offset:24 th:TH_ATOMIC_RETURN scope:SCOPE_SYS
	s_wait_loadcnt 0x0
	v_cmp_ne_u64_e32 vcc_lo, v[22:23], v[28:29]
	s_wait_xcnt 0x0
	s_and_b32 exec_lo, exec_lo, vcc_lo
	s_cbranch_execz .LBB11_30
; %bb.104:                              ;   in Loop: Header=BB11_31 Depth=2
	s_mov_b32 s18, 0
.LBB11_105:                             ;   Parent Loop BB11_2 Depth=1
                                        ;     Parent Loop BB11_31 Depth=2
                                        ; =>    This Inner Loop Header: Depth=3
	v_dual_mov_b32 v20, s0 :: v_dual_mov_b32 v21, s1
	s_sleep 1
	global_store_b64 v[24:25], v[22:23], off
	global_wb scope:SCOPE_SYS
	s_wait_storecnt 0x0
	s_wait_xcnt 0x0
	global_atomic_cmpswap_b64 v[20:21], v1, v[20:23], s[8:9] offset:24 th:TH_ATOMIC_RETURN scope:SCOPE_SYS
	s_wait_loadcnt 0x0
	v_cmp_eq_u64_e32 vcc_lo, v[20:21], v[22:23]
	s_wait_xcnt 0x0
	v_mov_b64_e32 v[22:23], v[20:21]
	s_or_b32 s18, vcc_lo, s18
	s_delay_alu instid0(SALU_CYCLE_1)
	s_and_not1_b32 exec_lo, exec_lo, s18
	s_cbranch_execnz .LBB11_105
	s_branch .LBB11_30
.LBB11_106:                             ;   in Loop: Header=BB11_2 Depth=1
	s_branch .LBB11_135
.LBB11_107:                             ;   in Loop: Header=BB11_2 Depth=1
                                        ; implicit-def: $vgpr18_vgpr19
	s_cbranch_execz .LBB11_135
; %bb.108:                              ;   in Loop: Header=BB11_2 Depth=1
	v_readfirstlane_b32 s0, v38
	s_wait_loadcnt 0x0
	v_mov_b64_e32 v[18:19], 0
	s_delay_alu instid0(VALU_DEP_2)
	v_cmp_eq_u32_e64 s0, s0, v38
	s_and_saveexec_b32 s1, s0
	s_cbranch_execz .LBB11_114
; %bb.109:                              ;   in Loop: Header=BB11_2 Depth=1
	global_load_b64 v[20:21], v1, s[8:9] offset:24 scope:SCOPE_SYS
	s_wait_loadcnt 0x0
	global_inv scope:SCOPE_SYS
	s_clause 0x1
	global_load_b64 v[18:19], v1, s[8:9] offset:40
	global_load_b64 v[22:23], v1, s[8:9]
	s_mov_b32 s12, exec_lo
	s_wait_loadcnt 0x1
	v_and_b32_e32 v18, v18, v20
	v_and_b32_e32 v19, v19, v21
	s_delay_alu instid0(VALU_DEP_1) | instskip(SKIP_1) | instid1(VALU_DEP_1)
	v_mul_u64_e32 v[18:19], 24, v[18:19]
	s_wait_loadcnt 0x0
	v_add_nc_u64_e32 v[18:19], v[22:23], v[18:19]
	global_load_b64 v[18:19], v[18:19], off scope:SCOPE_SYS
	s_wait_xcnt 0x0
	s_wait_loadcnt 0x0
	global_atomic_cmpswap_b64 v[18:19], v1, v[18:21], s[8:9] offset:24 th:TH_ATOMIC_RETURN scope:SCOPE_SYS
	s_wait_loadcnt 0x0
	global_inv scope:SCOPE_SYS
	s_wait_xcnt 0x0
	v_cmpx_ne_u64_e64 v[18:19], v[20:21]
	s_cbranch_execz .LBB11_113
; %bb.110:                              ;   in Loop: Header=BB11_2 Depth=1
	s_mov_b32 s13, 0
.LBB11_111:                             ;   Parent Loop BB11_2 Depth=1
                                        ; =>  This Inner Loop Header: Depth=2
	s_sleep 1
	s_clause 0x1
	global_load_b64 v[22:23], v1, s[8:9] offset:40
	global_load_b64 v[24:25], v1, s[8:9]
	v_mov_b64_e32 v[20:21], v[18:19]
	s_wait_loadcnt 0x1
	s_delay_alu instid0(VALU_DEP_1) | instskip(SKIP_1) | instid1(VALU_DEP_1)
	v_and_b32_e32 v0, v22, v20
	s_wait_loadcnt 0x0
	v_mad_nc_u64_u32 v[18:19], v0, 24, v[24:25]
	s_delay_alu instid0(VALU_DEP_3) | instskip(NEXT) | instid1(VALU_DEP_1)
	v_and_b32_e32 v0, v23, v21
	v_mad_u32 v19, v0, 24, v19
	global_load_b64 v[18:19], v[18:19], off scope:SCOPE_SYS
	s_wait_xcnt 0x0
	s_wait_loadcnt 0x0
	global_atomic_cmpswap_b64 v[18:19], v1, v[18:21], s[8:9] offset:24 th:TH_ATOMIC_RETURN scope:SCOPE_SYS
	s_wait_loadcnt 0x0
	global_inv scope:SCOPE_SYS
	v_cmp_eq_u64_e32 vcc_lo, v[18:19], v[20:21]
	s_or_b32 s13, vcc_lo, s13
	s_wait_xcnt 0x0
	s_and_not1_b32 exec_lo, exec_lo, s13
	s_cbranch_execnz .LBB11_111
; %bb.112:                              ;   in Loop: Header=BB11_2 Depth=1
	s_or_b32 exec_lo, exec_lo, s13
.LBB11_113:                             ;   in Loop: Header=BB11_2 Depth=1
	s_delay_alu instid0(SALU_CYCLE_1)
	s_or_b32 exec_lo, exec_lo, s12
.LBB11_114:                             ;   in Loop: Header=BB11_2 Depth=1
	s_delay_alu instid0(SALU_CYCLE_1)
	s_or_b32 exec_lo, exec_lo, s1
	s_clause 0x1
	global_load_b64 v[24:25], v1, s[8:9] offset:40
	global_load_b128 v[20:23], v1, s[8:9]
	v_readfirstlane_b32 s12, v18
	v_readfirstlane_b32 s13, v19
	s_mov_b32 s1, exec_lo
	s_wait_loadcnt 0x1
	v_and_b32_e32 v18, s12, v24
	v_and_b32_e32 v19, s13, v25
	s_delay_alu instid0(VALU_DEP_1) | instskip(SKIP_1) | instid1(VALU_DEP_1)
	v_mul_u64_e32 v[24:25], 24, v[18:19]
	s_wait_loadcnt 0x0
	v_add_nc_u64_e32 v[24:25], v[20:21], v[24:25]
	s_wait_xcnt 0x0
	s_and_saveexec_b32 s14, s0
	s_cbranch_execz .LBB11_116
; %bb.115:                              ;   in Loop: Header=BB11_2 Depth=1
	v_mov_b32_e32 v0, s1
	global_store_b128 v[24:25], v[0:3], off offset:8
.LBB11_116:                             ;   in Loop: Header=BB11_2 Depth=1
	s_wait_xcnt 0x0
	s_or_b32 exec_lo, exec_lo, s14
	v_lshlrev_b64_e32 v[18:19], 12, v[18:19]
	v_mov_b64_e32 v[28:29], s[6:7]
	v_mov_b64_e32 v[26:27], s[4:5]
	v_and_or_b32 v16, 0xffffff1f, v16, 32
	s_delay_alu instid0(VALU_DEP_4) | instskip(SKIP_1) | instid1(VALU_DEP_2)
	v_add_nc_u64_e32 v[22:23], v[22:23], v[18:19]
	v_dual_mov_b32 v18, v1 :: v_dual_mov_b32 v19, v1
	v_readfirstlane_b32 s14, v22
	s_delay_alu instid0(VALU_DEP_3)
	v_readfirstlane_b32 s15, v23
	s_clause 0x3
	global_store_b128 v40, v[16:19], s[14:15]
	global_store_b128 v40, v[26:29], s[14:15] offset:16
	global_store_b128 v40, v[26:29], s[14:15] offset:32
	;; [unrolled: 1-line block ×3, first 2 shown]
	s_wait_xcnt 0x0
	s_and_saveexec_b32 s1, s0
	s_cbranch_execz .LBB11_124
; %bb.117:                              ;   in Loop: Header=BB11_2 Depth=1
	s_clause 0x1
	global_load_b64 v[28:29], v1, s[8:9] offset:32 scope:SCOPE_SYS
	global_load_b64 v[16:17], v1, s[8:9] offset:40
	s_mov_b32 s14, exec_lo
	v_dual_mov_b32 v26, s12 :: v_dual_mov_b32 v27, s13
	s_wait_loadcnt 0x0
	v_and_b32_e32 v17, s13, v17
	v_and_b32_e32 v16, s12, v16
	s_delay_alu instid0(VALU_DEP_1) | instskip(NEXT) | instid1(VALU_DEP_1)
	v_mul_u64_e32 v[16:17], 24, v[16:17]
	v_add_nc_u64_e32 v[20:21], v[20:21], v[16:17]
	global_store_b64 v[20:21], v[28:29], off
	global_wb scope:SCOPE_SYS
	s_wait_storecnt 0x0
	s_wait_xcnt 0x0
	global_atomic_cmpswap_b64 v[18:19], v1, v[26:29], s[8:9] offset:32 th:TH_ATOMIC_RETURN scope:SCOPE_SYS
	s_wait_loadcnt 0x0
	s_wait_xcnt 0x0
	v_cmpx_ne_u64_e64 v[18:19], v[28:29]
	s_cbranch_execz .LBB11_120
; %bb.118:                              ;   in Loop: Header=BB11_2 Depth=1
	s_mov_b32 s15, 0
.LBB11_119:                             ;   Parent Loop BB11_2 Depth=1
                                        ; =>  This Inner Loop Header: Depth=2
	v_dual_mov_b32 v16, s12 :: v_dual_mov_b32 v17, s13
	s_sleep 1
	global_store_b64 v[20:21], v[18:19], off
	global_wb scope:SCOPE_SYS
	s_wait_storecnt 0x0
	s_wait_xcnt 0x0
	global_atomic_cmpswap_b64 v[16:17], v1, v[16:19], s[8:9] offset:32 th:TH_ATOMIC_RETURN scope:SCOPE_SYS
	s_wait_loadcnt 0x0
	v_cmp_eq_u64_e32 vcc_lo, v[16:17], v[18:19]
	s_wait_xcnt 0x0
	v_mov_b64_e32 v[18:19], v[16:17]
	s_or_b32 s15, vcc_lo, s15
	s_delay_alu instid0(SALU_CYCLE_1)
	s_and_not1_b32 exec_lo, exec_lo, s15
	s_cbranch_execnz .LBB11_119
.LBB11_120:                             ;   in Loop: Header=BB11_2 Depth=1
	s_or_b32 exec_lo, exec_lo, s14
	global_load_b64 v[16:17], v1, s[8:9] offset:16
	s_mov_b32 s15, exec_lo
	s_mov_b32 s14, exec_lo
	v_mbcnt_lo_u32_b32 v0, s15, 0
	s_wait_xcnt 0x0
	s_delay_alu instid0(VALU_DEP_1)
	v_cmpx_eq_u32_e32 0, v0
	s_cbranch_execz .LBB11_122
; %bb.121:                              ;   in Loop: Header=BB11_2 Depth=1
	s_bcnt1_i32_b32 s15, s15
	s_delay_alu instid0(SALU_CYCLE_1)
	v_mov_b32_e32 v0, s15
	global_wb scope:SCOPE_SYS
	s_wait_loadcnt 0x0
	s_wait_storecnt 0x0
	global_atomic_add_u64 v[16:17], v[0:1], off offset:8 scope:SCOPE_SYS
.LBB11_122:                             ;   in Loop: Header=BB11_2 Depth=1
	s_wait_xcnt 0x0
	s_or_b32 exec_lo, exec_lo, s14
	s_wait_loadcnt 0x0
	global_load_b64 v[18:19], v[16:17], off offset:16
	s_wait_loadcnt 0x0
	v_cmp_eq_u64_e32 vcc_lo, 0, v[18:19]
	s_cbranch_vccnz .LBB11_124
; %bb.123:                              ;   in Loop: Header=BB11_2 Depth=1
	global_load_b32 v0, v[16:17], off offset:24
	s_wait_loadcnt 0x0
	v_readfirstlane_b32 s14, v0
	global_wb scope:SCOPE_SYS
	s_wait_storecnt 0x0
	s_wait_xcnt 0x0
	global_store_b64 v[18:19], v[0:1], off scope:SCOPE_SYS
	s_and_b32 m0, s14, 0xffffff
	s_sendmsg sendmsg(MSG_INTERRUPT)
.LBB11_124:                             ;   in Loop: Header=BB11_2 Depth=1
	s_wait_xcnt 0x0
	s_or_b32 exec_lo, exec_lo, s1
	v_mov_b32_e32 v41, v1
	s_delay_alu instid0(VALU_DEP_1)
	v_add_nc_u64_e32 v[16:17], v[22:23], v[40:41]
	s_branch .LBB11_128
.LBB11_125:                             ;   in Loop: Header=BB11_128 Depth=2
	s_wait_xcnt 0x0
	s_or_b32 exec_lo, exec_lo, s1
	s_delay_alu instid0(VALU_DEP_1)
	v_readfirstlane_b32 s1, v0
	s_cmp_eq_u32 s1, 0
	s_cbranch_scc1 .LBB11_127
; %bb.126:                              ;   in Loop: Header=BB11_128 Depth=2
	s_sleep 1
	s_cbranch_execnz .LBB11_128
	s_branch .LBB11_130
.LBB11_127:                             ;   in Loop: Header=BB11_2 Depth=1
	s_branch .LBB11_130
.LBB11_128:                             ;   Parent Loop BB11_2 Depth=1
                                        ; =>  This Inner Loop Header: Depth=2
	v_mov_b32_e32 v0, 1
	s_and_saveexec_b32 s1, s0
	s_cbranch_execz .LBB11_125
; %bb.129:                              ;   in Loop: Header=BB11_128 Depth=2
	global_load_b32 v0, v[24:25], off offset:20 scope:SCOPE_SYS
	s_wait_loadcnt 0x0
	global_inv scope:SCOPE_SYS
	v_and_b32_e32 v0, 1, v0
	s_branch .LBB11_125
.LBB11_130:                             ;   in Loop: Header=BB11_2 Depth=1
	global_load_b64 v[18:19], v[16:17], off
	s_wait_xcnt 0x0
	s_and_saveexec_b32 s14, s0
	s_cbranch_execz .LBB11_134
; %bb.131:                              ;   in Loop: Header=BB11_2 Depth=1
	s_clause 0x2
	global_load_b64 v[16:17], v1, s[8:9] offset:40
	global_load_b64 v[24:25], v1, s[8:9] offset:24 scope:SCOPE_SYS
	global_load_b64 v[20:21], v1, s[8:9]
	s_wait_loadcnt 0x2
	v_readfirstlane_b32 s16, v16
	v_readfirstlane_b32 s17, v17
	s_add_nc_u64 s[0:1], s[16:17], 1
	s_delay_alu instid0(SALU_CYCLE_1) | instskip(NEXT) | instid1(SALU_CYCLE_1)
	s_add_nc_u64 s[12:13], s[0:1], s[12:13]
	s_cmp_eq_u64 s[12:13], 0
	s_cselect_b32 s1, s1, s13
	s_cselect_b32 s0, s0, s12
	s_delay_alu instid0(SALU_CYCLE_1) | instskip(SKIP_1) | instid1(SALU_CYCLE_1)
	v_dual_mov_b32 v23, s1 :: v_dual_mov_b32 v22, s0
	s_and_b64 s[12:13], s[0:1], s[16:17]
	s_mul_u64 s[12:13], s[12:13], 24
	s_wait_loadcnt 0x0
	v_add_nc_u64_e32 v[16:17], s[12:13], v[20:21]
	global_store_b64 v[16:17], v[24:25], off
	global_wb scope:SCOPE_SYS
	s_wait_storecnt 0x0
	s_wait_xcnt 0x0
	global_atomic_cmpswap_b64 v[22:23], v1, v[22:25], s[8:9] offset:24 th:TH_ATOMIC_RETURN scope:SCOPE_SYS
	s_wait_loadcnt 0x0
	v_cmp_ne_u64_e32 vcc_lo, v[22:23], v[24:25]
	s_wait_xcnt 0x0
	s_and_b32 exec_lo, exec_lo, vcc_lo
	s_cbranch_execz .LBB11_134
; %bb.132:                              ;   in Loop: Header=BB11_2 Depth=1
	s_mov_b32 s12, 0
.LBB11_133:                             ;   Parent Loop BB11_2 Depth=1
                                        ; =>  This Inner Loop Header: Depth=2
	v_dual_mov_b32 v20, s0 :: v_dual_mov_b32 v21, s1
	s_sleep 1
	global_store_b64 v[16:17], v[22:23], off
	global_wb scope:SCOPE_SYS
	s_wait_storecnt 0x0
	s_wait_xcnt 0x0
	global_atomic_cmpswap_b64 v[20:21], v1, v[20:23], s[8:9] offset:24 th:TH_ATOMIC_RETURN scope:SCOPE_SYS
	s_wait_loadcnt 0x0
	v_cmp_eq_u64_e32 vcc_lo, v[20:21], v[22:23]
	s_wait_xcnt 0x0
	v_mov_b64_e32 v[22:23], v[20:21]
	s_or_b32 s12, vcc_lo, s12
	s_delay_alu instid0(SALU_CYCLE_1)
	s_and_not1_b32 exec_lo, exec_lo, s12
	s_cbranch_execnz .LBB11_133
.LBB11_134:                             ;   in Loop: Header=BB11_2 Depth=1
	s_or_b32 exec_lo, exec_lo, s14
.LBB11_135:                             ;   in Loop: Header=BB11_2 Depth=1
	v_readfirstlane_b32 s0, v38
	s_wait_loadcnt 0x0
	v_mov_b64_e32 v[16:17], 0
	s_delay_alu instid0(VALU_DEP_2)
	v_cmp_eq_u32_e64 s0, s0, v38
	s_and_saveexec_b32 s1, s0
	s_cbranch_execz .LBB11_141
; %bb.136:                              ;   in Loop: Header=BB11_2 Depth=1
	global_load_b64 v[22:23], v1, s[8:9] offset:24 scope:SCOPE_SYS
	s_wait_loadcnt 0x0
	global_inv scope:SCOPE_SYS
	s_clause 0x1
	global_load_b64 v[16:17], v1, s[8:9] offset:40
	global_load_b64 v[20:21], v1, s[8:9]
	s_mov_b32 s12, exec_lo
	s_wait_loadcnt 0x1
	v_and_b32_e32 v16, v16, v22
	v_and_b32_e32 v17, v17, v23
	s_delay_alu instid0(VALU_DEP_1) | instskip(SKIP_1) | instid1(VALU_DEP_1)
	v_mul_u64_e32 v[16:17], 24, v[16:17]
	s_wait_loadcnt 0x0
	v_add_nc_u64_e32 v[16:17], v[20:21], v[16:17]
	global_load_b64 v[20:21], v[16:17], off scope:SCOPE_SYS
	s_wait_xcnt 0x0
	s_wait_loadcnt 0x0
	global_atomic_cmpswap_b64 v[16:17], v1, v[20:23], s[8:9] offset:24 th:TH_ATOMIC_RETURN scope:SCOPE_SYS
	s_wait_loadcnt 0x0
	global_inv scope:SCOPE_SYS
	s_wait_xcnt 0x0
	v_cmpx_ne_u64_e64 v[16:17], v[22:23]
	s_cbranch_execz .LBB11_140
; %bb.137:                              ;   in Loop: Header=BB11_2 Depth=1
	s_mov_b32 s13, 0
.LBB11_138:                             ;   Parent Loop BB11_2 Depth=1
                                        ; =>  This Inner Loop Header: Depth=2
	s_sleep 1
	s_clause 0x1
	global_load_b64 v[20:21], v1, s[8:9] offset:40
	global_load_b64 v[24:25], v1, s[8:9]
	v_mov_b64_e32 v[22:23], v[16:17]
	s_wait_loadcnt 0x1
	s_delay_alu instid0(VALU_DEP_1) | instskip(SKIP_1) | instid1(VALU_DEP_1)
	v_and_b32_e32 v0, v20, v22
	s_wait_loadcnt 0x0
	v_mad_nc_u64_u32 v[16:17], v0, 24, v[24:25]
	s_delay_alu instid0(VALU_DEP_3) | instskip(NEXT) | instid1(VALU_DEP_1)
	v_and_b32_e32 v0, v21, v23
	v_mad_u32 v17, v0, 24, v17
	global_load_b64 v[20:21], v[16:17], off scope:SCOPE_SYS
	s_wait_xcnt 0x0
	s_wait_loadcnt 0x0
	global_atomic_cmpswap_b64 v[16:17], v1, v[20:23], s[8:9] offset:24 th:TH_ATOMIC_RETURN scope:SCOPE_SYS
	s_wait_loadcnt 0x0
	global_inv scope:SCOPE_SYS
	v_cmp_eq_u64_e32 vcc_lo, v[16:17], v[22:23]
	s_or_b32 s13, vcc_lo, s13
	s_wait_xcnt 0x0
	s_and_not1_b32 exec_lo, exec_lo, s13
	s_cbranch_execnz .LBB11_138
; %bb.139:                              ;   in Loop: Header=BB11_2 Depth=1
	s_or_b32 exec_lo, exec_lo, s13
.LBB11_140:                             ;   in Loop: Header=BB11_2 Depth=1
	s_delay_alu instid0(SALU_CYCLE_1)
	s_or_b32 exec_lo, exec_lo, s12
.LBB11_141:                             ;   in Loop: Header=BB11_2 Depth=1
	s_delay_alu instid0(SALU_CYCLE_1)
	s_or_b32 exec_lo, exec_lo, s1
	s_clause 0x1
	global_load_b64 v[20:21], v1, s[8:9] offset:40
	global_load_b128 v[22:25], v1, s[8:9]
	v_readfirstlane_b32 s12, v16
	v_readfirstlane_b32 s13, v17
	s_mov_b32 s1, exec_lo
	s_wait_loadcnt 0x1
	v_and_b32_e32 v16, s12, v20
	v_and_b32_e32 v17, s13, v21
	s_delay_alu instid0(VALU_DEP_1) | instskip(SKIP_1) | instid1(VALU_DEP_1)
	v_mul_u64_e32 v[20:21], 24, v[16:17]
	s_wait_loadcnt 0x0
	v_add_nc_u64_e32 v[26:27], v[22:23], v[20:21]
	s_wait_xcnt 0x0
	s_and_saveexec_b32 s14, s0
	s_cbranch_execz .LBB11_143
; %bb.142:                              ;   in Loop: Header=BB11_2 Depth=1
	v_mov_b32_e32 v0, s1
	global_store_b128 v[26:27], v[0:3], off offset:8
.LBB11_143:                             ;   in Loop: Header=BB11_2 Depth=1
	s_wait_xcnt 0x0
	s_or_b32 exec_lo, exec_lo, s14
	v_lshlrev_b64_e32 v[16:17], 12, v[16:17]
	v_mov_b64_e32 v[30:31], s[6:7]
	v_mov_b64_e32 v[28:29], s[4:5]
	v_and_or_b32 v18, 0xffffff1f, v18, 32
	v_dual_mov_b32 v20, s24 :: v_dual_mov_b32 v21, v1
	v_add_nc_u64_e32 v[24:25], v[24:25], v[16:17]
	s_delay_alu instid0(VALU_DEP_1) | instskip(NEXT) | instid1(VALU_DEP_2)
	v_readfirstlane_b32 s14, v24
	v_readfirstlane_b32 s15, v25
	s_clause 0x3
	global_store_b128 v40, v[18:21], s[14:15]
	global_store_b128 v40, v[28:31], s[14:15] offset:16
	global_store_b128 v40, v[28:31], s[14:15] offset:32
	;; [unrolled: 1-line block ×3, first 2 shown]
	s_wait_xcnt 0x0
	s_and_saveexec_b32 s1, s0
	s_cbranch_execz .LBB11_151
; %bb.144:                              ;   in Loop: Header=BB11_2 Depth=1
	s_clause 0x1
	global_load_b64 v[30:31], v1, s[8:9] offset:32 scope:SCOPE_SYS
	global_load_b64 v[16:17], v1, s[8:9] offset:40
	s_mov_b32 s14, exec_lo
	v_dual_mov_b32 v28, s12 :: v_dual_mov_b32 v29, s13
	s_wait_loadcnt 0x0
	v_and_b32_e32 v17, s13, v17
	v_and_b32_e32 v16, s12, v16
	s_delay_alu instid0(VALU_DEP_1) | instskip(NEXT) | instid1(VALU_DEP_1)
	v_mul_u64_e32 v[16:17], 24, v[16:17]
	v_add_nc_u64_e32 v[20:21], v[22:23], v[16:17]
	global_store_b64 v[20:21], v[30:31], off
	global_wb scope:SCOPE_SYS
	s_wait_storecnt 0x0
	s_wait_xcnt 0x0
	global_atomic_cmpswap_b64 v[18:19], v1, v[28:31], s[8:9] offset:32 th:TH_ATOMIC_RETURN scope:SCOPE_SYS
	s_wait_loadcnt 0x0
	s_wait_xcnt 0x0
	v_cmpx_ne_u64_e64 v[18:19], v[30:31]
	s_cbranch_execz .LBB11_147
; %bb.145:                              ;   in Loop: Header=BB11_2 Depth=1
	s_mov_b32 s15, 0
.LBB11_146:                             ;   Parent Loop BB11_2 Depth=1
                                        ; =>  This Inner Loop Header: Depth=2
	v_dual_mov_b32 v16, s12 :: v_dual_mov_b32 v17, s13
	s_sleep 1
	global_store_b64 v[20:21], v[18:19], off
	global_wb scope:SCOPE_SYS
	s_wait_storecnt 0x0
	s_wait_xcnt 0x0
	global_atomic_cmpswap_b64 v[16:17], v1, v[16:19], s[8:9] offset:32 th:TH_ATOMIC_RETURN scope:SCOPE_SYS
	s_wait_loadcnt 0x0
	v_cmp_eq_u64_e32 vcc_lo, v[16:17], v[18:19]
	s_wait_xcnt 0x0
	v_mov_b64_e32 v[18:19], v[16:17]
	s_or_b32 s15, vcc_lo, s15
	s_delay_alu instid0(SALU_CYCLE_1)
	s_and_not1_b32 exec_lo, exec_lo, s15
	s_cbranch_execnz .LBB11_146
.LBB11_147:                             ;   in Loop: Header=BB11_2 Depth=1
	s_or_b32 exec_lo, exec_lo, s14
	global_load_b64 v[16:17], v1, s[8:9] offset:16
	s_mov_b32 s15, exec_lo
	s_mov_b32 s14, exec_lo
	v_mbcnt_lo_u32_b32 v0, s15, 0
	s_wait_xcnt 0x0
	s_delay_alu instid0(VALU_DEP_1)
	v_cmpx_eq_u32_e32 0, v0
	s_cbranch_execz .LBB11_149
; %bb.148:                              ;   in Loop: Header=BB11_2 Depth=1
	s_bcnt1_i32_b32 s15, s15
	s_delay_alu instid0(SALU_CYCLE_1)
	v_mov_b32_e32 v0, s15
	global_wb scope:SCOPE_SYS
	s_wait_loadcnt 0x0
	s_wait_storecnt 0x0
	global_atomic_add_u64 v[16:17], v[0:1], off offset:8 scope:SCOPE_SYS
.LBB11_149:                             ;   in Loop: Header=BB11_2 Depth=1
	s_wait_xcnt 0x0
	s_or_b32 exec_lo, exec_lo, s14
	s_wait_loadcnt 0x0
	global_load_b64 v[18:19], v[16:17], off offset:16
	s_wait_loadcnt 0x0
	v_cmp_eq_u64_e32 vcc_lo, 0, v[18:19]
	s_cbranch_vccnz .LBB11_151
; %bb.150:                              ;   in Loop: Header=BB11_2 Depth=1
	global_load_b32 v0, v[16:17], off offset:24
	s_wait_loadcnt 0x0
	v_readfirstlane_b32 s14, v0
	global_wb scope:SCOPE_SYS
	s_wait_storecnt 0x0
	s_wait_xcnt 0x0
	global_store_b64 v[18:19], v[0:1], off scope:SCOPE_SYS
	s_and_b32 m0, s14, 0xffffff
	s_sendmsg sendmsg(MSG_INTERRUPT)
.LBB11_151:                             ;   in Loop: Header=BB11_2 Depth=1
	s_wait_xcnt 0x0
	s_or_b32 exec_lo, exec_lo, s1
	v_mov_b32_e32 v41, v1
	s_delay_alu instid0(VALU_DEP_1)
	v_add_nc_u64_e32 v[16:17], v[24:25], v[40:41]
	s_branch .LBB11_155
.LBB11_152:                             ;   in Loop: Header=BB11_155 Depth=2
	s_wait_xcnt 0x0
	s_or_b32 exec_lo, exec_lo, s1
	s_delay_alu instid0(VALU_DEP_1)
	v_readfirstlane_b32 s1, v0
	s_cmp_eq_u32 s1, 0
	s_cbranch_scc1 .LBB11_154
; %bb.153:                              ;   in Loop: Header=BB11_155 Depth=2
	s_sleep 1
	s_cbranch_execnz .LBB11_155
	s_branch .LBB11_157
.LBB11_154:                             ;   in Loop: Header=BB11_2 Depth=1
	s_branch .LBB11_157
.LBB11_155:                             ;   Parent Loop BB11_2 Depth=1
                                        ; =>  This Inner Loop Header: Depth=2
	v_mov_b32_e32 v0, 1
	s_and_saveexec_b32 s1, s0
	s_cbranch_execz .LBB11_152
; %bb.156:                              ;   in Loop: Header=BB11_155 Depth=2
	global_load_b32 v0, v[26:27], off offset:20 scope:SCOPE_SYS
	s_wait_loadcnt 0x0
	global_inv scope:SCOPE_SYS
	v_and_b32_e32 v0, 1, v0
	s_branch .LBB11_152
.LBB11_157:                             ;   in Loop: Header=BB11_2 Depth=1
	global_load_b64 v[16:17], v[16:17], off
	s_wait_xcnt 0x0
	s_and_saveexec_b32 s14, s0
	s_cbranch_execz .LBB11_161
; %bb.158:                              ;   in Loop: Header=BB11_2 Depth=1
	s_clause 0x2
	global_load_b64 v[18:19], v1, s[8:9] offset:40
	global_load_b64 v[26:27], v1, s[8:9] offset:24 scope:SCOPE_SYS
	global_load_b64 v[20:21], v1, s[8:9]
	s_wait_loadcnt 0x2
	v_readfirstlane_b32 s16, v18
	v_readfirstlane_b32 s17, v19
	s_add_nc_u64 s[0:1], s[16:17], 1
	s_delay_alu instid0(SALU_CYCLE_1) | instskip(NEXT) | instid1(SALU_CYCLE_1)
	s_add_nc_u64 s[12:13], s[0:1], s[12:13]
	s_cmp_eq_u64 s[12:13], 0
	s_cselect_b32 s1, s1, s13
	s_cselect_b32 s0, s0, s12
	s_delay_alu instid0(SALU_CYCLE_1) | instskip(SKIP_1) | instid1(SALU_CYCLE_1)
	v_dual_mov_b32 v25, s1 :: v_dual_mov_b32 v24, s0
	s_and_b64 s[12:13], s[0:1], s[16:17]
	s_mul_u64 s[12:13], s[12:13], 24
	s_wait_loadcnt 0x0
	v_add_nc_u64_e32 v[22:23], s[12:13], v[20:21]
	global_store_b64 v[22:23], v[26:27], off
	global_wb scope:SCOPE_SYS
	s_wait_storecnt 0x0
	s_wait_xcnt 0x0
	global_atomic_cmpswap_b64 v[20:21], v1, v[24:27], s[8:9] offset:24 th:TH_ATOMIC_RETURN scope:SCOPE_SYS
	s_wait_loadcnt 0x0
	v_cmp_ne_u64_e32 vcc_lo, v[20:21], v[26:27]
	s_wait_xcnt 0x0
	s_and_b32 exec_lo, exec_lo, vcc_lo
	s_cbranch_execz .LBB11_161
; %bb.159:                              ;   in Loop: Header=BB11_2 Depth=1
	s_mov_b32 s12, 0
.LBB11_160:                             ;   Parent Loop BB11_2 Depth=1
                                        ; =>  This Inner Loop Header: Depth=2
	v_dual_mov_b32 v18, s0 :: v_dual_mov_b32 v19, s1
	s_sleep 1
	global_store_b64 v[22:23], v[20:21], off
	global_wb scope:SCOPE_SYS
	s_wait_storecnt 0x0
	s_wait_xcnt 0x0
	global_atomic_cmpswap_b64 v[18:19], v1, v[18:21], s[8:9] offset:24 th:TH_ATOMIC_RETURN scope:SCOPE_SYS
	s_wait_loadcnt 0x0
	v_cmp_eq_u64_e32 vcc_lo, v[18:19], v[20:21]
	s_wait_xcnt 0x0
	v_mov_b64_e32 v[20:21], v[18:19]
	s_or_b32 s12, vcc_lo, s12
	s_delay_alu instid0(SALU_CYCLE_1)
	s_and_not1_b32 exec_lo, exec_lo, s12
	s_cbranch_execnz .LBB11_160
.LBB11_161:                             ;   in Loop: Header=BB11_2 Depth=1
	s_or_b32 exec_lo, exec_lo, s14
	v_readfirstlane_b32 s0, v38
	v_mov_b64_e32 v[18:19], 0
	s_delay_alu instid0(VALU_DEP_2)
	v_cmp_eq_u32_e64 s0, s0, v38
	s_and_saveexec_b32 s1, s0
	s_cbranch_execz .LBB11_167
; %bb.162:                              ;   in Loop: Header=BB11_2 Depth=1
	global_load_b64 v[20:21], v1, s[8:9] offset:24 scope:SCOPE_SYS
	s_wait_loadcnt 0x0
	global_inv scope:SCOPE_SYS
	s_clause 0x1
	global_load_b64 v[18:19], v1, s[8:9] offset:40
	global_load_b64 v[22:23], v1, s[8:9]
	s_mov_b32 s12, exec_lo
	s_wait_loadcnt 0x1
	v_and_b32_e32 v18, v18, v20
	v_and_b32_e32 v19, v19, v21
	s_delay_alu instid0(VALU_DEP_1) | instskip(SKIP_1) | instid1(VALU_DEP_1)
	v_mul_u64_e32 v[18:19], 24, v[18:19]
	s_wait_loadcnt 0x0
	v_add_nc_u64_e32 v[18:19], v[22:23], v[18:19]
	global_load_b64 v[18:19], v[18:19], off scope:SCOPE_SYS
	s_wait_xcnt 0x0
	s_wait_loadcnt 0x0
	global_atomic_cmpswap_b64 v[18:19], v1, v[18:21], s[8:9] offset:24 th:TH_ATOMIC_RETURN scope:SCOPE_SYS
	s_wait_loadcnt 0x0
	global_inv scope:SCOPE_SYS
	s_wait_xcnt 0x0
	v_cmpx_ne_u64_e64 v[18:19], v[20:21]
	s_cbranch_execz .LBB11_166
; %bb.163:                              ;   in Loop: Header=BB11_2 Depth=1
	s_mov_b32 s13, 0
.LBB11_164:                             ;   Parent Loop BB11_2 Depth=1
                                        ; =>  This Inner Loop Header: Depth=2
	s_sleep 1
	s_clause 0x1
	global_load_b64 v[22:23], v1, s[8:9] offset:40
	global_load_b64 v[24:25], v1, s[8:9]
	v_mov_b64_e32 v[20:21], v[18:19]
	s_wait_loadcnt 0x1
	s_delay_alu instid0(VALU_DEP_1) | instskip(SKIP_1) | instid1(VALU_DEP_1)
	v_and_b32_e32 v0, v22, v20
	s_wait_loadcnt 0x0
	v_mad_nc_u64_u32 v[18:19], v0, 24, v[24:25]
	s_delay_alu instid0(VALU_DEP_3) | instskip(NEXT) | instid1(VALU_DEP_1)
	v_and_b32_e32 v0, v23, v21
	v_mad_u32 v19, v0, 24, v19
	global_load_b64 v[18:19], v[18:19], off scope:SCOPE_SYS
	s_wait_xcnt 0x0
	s_wait_loadcnt 0x0
	global_atomic_cmpswap_b64 v[18:19], v1, v[18:21], s[8:9] offset:24 th:TH_ATOMIC_RETURN scope:SCOPE_SYS
	s_wait_loadcnt 0x0
	global_inv scope:SCOPE_SYS
	v_cmp_eq_u64_e32 vcc_lo, v[18:19], v[20:21]
	s_or_b32 s13, vcc_lo, s13
	s_wait_xcnt 0x0
	s_and_not1_b32 exec_lo, exec_lo, s13
	s_cbranch_execnz .LBB11_164
; %bb.165:                              ;   in Loop: Header=BB11_2 Depth=1
	s_or_b32 exec_lo, exec_lo, s13
.LBB11_166:                             ;   in Loop: Header=BB11_2 Depth=1
	s_delay_alu instid0(SALU_CYCLE_1)
	s_or_b32 exec_lo, exec_lo, s12
.LBB11_167:                             ;   in Loop: Header=BB11_2 Depth=1
	s_delay_alu instid0(SALU_CYCLE_1)
	s_or_b32 exec_lo, exec_lo, s1
	s_clause 0x1
	global_load_b64 v[24:25], v1, s[8:9] offset:40
	global_load_b128 v[20:23], v1, s[8:9]
	v_readfirstlane_b32 s12, v18
	v_readfirstlane_b32 s13, v19
	s_mov_b32 s1, exec_lo
	s_wait_loadcnt 0x1
	v_and_b32_e32 v18, s12, v24
	v_and_b32_e32 v19, s13, v25
	s_delay_alu instid0(VALU_DEP_1) | instskip(SKIP_1) | instid1(VALU_DEP_1)
	v_mul_u64_e32 v[24:25], 24, v[18:19]
	s_wait_loadcnt 0x0
	v_add_nc_u64_e32 v[24:25], v[20:21], v[24:25]
	s_wait_xcnt 0x0
	s_and_saveexec_b32 s14, s0
	s_cbranch_execz .LBB11_169
; %bb.168:                              ;   in Loop: Header=BB11_2 Depth=1
	v_mov_b32_e32 v0, s1
	global_store_b128 v[24:25], v[0:3], off offset:8
.LBB11_169:                             ;   in Loop: Header=BB11_2 Depth=1
	s_wait_xcnt 0x0
	s_or_b32 exec_lo, exec_lo, s14
	v_lshlrev_b64_e32 v[18:19], 12, v[18:19]
	v_mov_b64_e32 v[28:29], s[6:7]
	v_mov_b64_e32 v[26:27], s[4:5]
	v_and_or_b32 v16, 0xffffff1f, v16, 32
	s_delay_alu instid0(VALU_DEP_4) | instskip(SKIP_2) | instid1(VALU_DEP_3)
	v_add_nc_u64_e32 v[22:23], v[22:23], v[18:19]
	v_and_b32_e32 v18, 0xffff, v39
	v_mov_b32_e32 v19, v1
	v_readfirstlane_b32 s14, v22
	s_delay_alu instid0(VALU_DEP_4)
	v_readfirstlane_b32 s15, v23
	s_clause 0x3
	global_store_b128 v40, v[16:19], s[14:15]
	global_store_b128 v40, v[26:29], s[14:15] offset:16
	global_store_b128 v40, v[26:29], s[14:15] offset:32
	;; [unrolled: 1-line block ×3, first 2 shown]
	s_wait_xcnt 0x0
	s_and_saveexec_b32 s1, s0
	s_cbranch_execz .LBB11_177
; %bb.170:                              ;   in Loop: Header=BB11_2 Depth=1
	s_clause 0x1
	global_load_b64 v[28:29], v1, s[8:9] offset:32 scope:SCOPE_SYS
	global_load_b64 v[16:17], v1, s[8:9] offset:40
	s_mov_b32 s14, exec_lo
	v_dual_mov_b32 v26, s12 :: v_dual_mov_b32 v27, s13
	s_wait_loadcnt 0x0
	v_and_b32_e32 v17, s13, v17
	v_and_b32_e32 v16, s12, v16
	s_delay_alu instid0(VALU_DEP_1) | instskip(NEXT) | instid1(VALU_DEP_1)
	v_mul_u64_e32 v[16:17], 24, v[16:17]
	v_add_nc_u64_e32 v[20:21], v[20:21], v[16:17]
	global_store_b64 v[20:21], v[28:29], off
	global_wb scope:SCOPE_SYS
	s_wait_storecnt 0x0
	s_wait_xcnt 0x0
	global_atomic_cmpswap_b64 v[18:19], v1, v[26:29], s[8:9] offset:32 th:TH_ATOMIC_RETURN scope:SCOPE_SYS
	s_wait_loadcnt 0x0
	s_wait_xcnt 0x0
	v_cmpx_ne_u64_e64 v[18:19], v[28:29]
	s_cbranch_execz .LBB11_173
; %bb.171:                              ;   in Loop: Header=BB11_2 Depth=1
	s_mov_b32 s15, 0
.LBB11_172:                             ;   Parent Loop BB11_2 Depth=1
                                        ; =>  This Inner Loop Header: Depth=2
	v_dual_mov_b32 v16, s12 :: v_dual_mov_b32 v17, s13
	s_sleep 1
	global_store_b64 v[20:21], v[18:19], off
	global_wb scope:SCOPE_SYS
	s_wait_storecnt 0x0
	s_wait_xcnt 0x0
	global_atomic_cmpswap_b64 v[16:17], v1, v[16:19], s[8:9] offset:32 th:TH_ATOMIC_RETURN scope:SCOPE_SYS
	s_wait_loadcnt 0x0
	v_cmp_eq_u64_e32 vcc_lo, v[16:17], v[18:19]
	s_wait_xcnt 0x0
	v_mov_b64_e32 v[18:19], v[16:17]
	s_or_b32 s15, vcc_lo, s15
	s_delay_alu instid0(SALU_CYCLE_1)
	s_and_not1_b32 exec_lo, exec_lo, s15
	s_cbranch_execnz .LBB11_172
.LBB11_173:                             ;   in Loop: Header=BB11_2 Depth=1
	s_or_b32 exec_lo, exec_lo, s14
	global_load_b64 v[16:17], v1, s[8:9] offset:16
	s_mov_b32 s15, exec_lo
	s_mov_b32 s14, exec_lo
	v_mbcnt_lo_u32_b32 v0, s15, 0
	s_wait_xcnt 0x0
	s_delay_alu instid0(VALU_DEP_1)
	v_cmpx_eq_u32_e32 0, v0
	s_cbranch_execz .LBB11_175
; %bb.174:                              ;   in Loop: Header=BB11_2 Depth=1
	s_bcnt1_i32_b32 s15, s15
	s_delay_alu instid0(SALU_CYCLE_1)
	v_mov_b32_e32 v0, s15
	global_wb scope:SCOPE_SYS
	s_wait_loadcnt 0x0
	s_wait_storecnt 0x0
	global_atomic_add_u64 v[16:17], v[0:1], off offset:8 scope:SCOPE_SYS
.LBB11_175:                             ;   in Loop: Header=BB11_2 Depth=1
	s_wait_xcnt 0x0
	s_or_b32 exec_lo, exec_lo, s14
	s_wait_loadcnt 0x0
	global_load_b64 v[18:19], v[16:17], off offset:16
	s_wait_loadcnt 0x0
	v_cmp_eq_u64_e32 vcc_lo, 0, v[18:19]
	s_cbranch_vccnz .LBB11_177
; %bb.176:                              ;   in Loop: Header=BB11_2 Depth=1
	global_load_b32 v0, v[16:17], off offset:24
	s_wait_loadcnt 0x0
	v_readfirstlane_b32 s14, v0
	global_wb scope:SCOPE_SYS
	s_wait_storecnt 0x0
	s_wait_xcnt 0x0
	global_store_b64 v[18:19], v[0:1], off scope:SCOPE_SYS
	s_and_b32 m0, s14, 0xffffff
	s_sendmsg sendmsg(MSG_INTERRUPT)
.LBB11_177:                             ;   in Loop: Header=BB11_2 Depth=1
	s_wait_xcnt 0x0
	s_or_b32 exec_lo, exec_lo, s1
	v_mov_b32_e32 v41, v1
	s_delay_alu instid0(VALU_DEP_1)
	v_add_nc_u64_e32 v[16:17], v[22:23], v[40:41]
	s_branch .LBB11_181
.LBB11_178:                             ;   in Loop: Header=BB11_181 Depth=2
	s_wait_xcnt 0x0
	s_or_b32 exec_lo, exec_lo, s1
	s_delay_alu instid0(VALU_DEP_1)
	v_readfirstlane_b32 s1, v0
	s_cmp_eq_u32 s1, 0
	s_cbranch_scc1 .LBB11_180
; %bb.179:                              ;   in Loop: Header=BB11_181 Depth=2
	s_sleep 1
	s_cbranch_execnz .LBB11_181
	s_branch .LBB11_183
.LBB11_180:                             ;   in Loop: Header=BB11_2 Depth=1
	s_branch .LBB11_183
.LBB11_181:                             ;   Parent Loop BB11_2 Depth=1
                                        ; =>  This Inner Loop Header: Depth=2
	v_mov_b32_e32 v0, 1
	s_and_saveexec_b32 s1, s0
	s_cbranch_execz .LBB11_178
; %bb.182:                              ;   in Loop: Header=BB11_181 Depth=2
	global_load_b32 v0, v[24:25], off offset:20 scope:SCOPE_SYS
	s_wait_loadcnt 0x0
	global_inv scope:SCOPE_SYS
	v_and_b32_e32 v0, 1, v0
	s_branch .LBB11_178
.LBB11_183:                             ;   in Loop: Header=BB11_2 Depth=1
	global_load_b64 v[16:17], v[16:17], off
	s_wait_xcnt 0x0
	s_and_saveexec_b32 s14, s0
	s_cbranch_execz .LBB11_187
; %bb.184:                              ;   in Loop: Header=BB11_2 Depth=1
	s_clause 0x2
	global_load_b64 v[18:19], v1, s[8:9] offset:40
	global_load_b64 v[26:27], v1, s[8:9] offset:24 scope:SCOPE_SYS
	global_load_b64 v[20:21], v1, s[8:9]
	s_wait_loadcnt 0x2
	v_readfirstlane_b32 s16, v18
	v_readfirstlane_b32 s17, v19
	s_add_nc_u64 s[0:1], s[16:17], 1
	s_delay_alu instid0(SALU_CYCLE_1) | instskip(NEXT) | instid1(SALU_CYCLE_1)
	s_add_nc_u64 s[12:13], s[0:1], s[12:13]
	s_cmp_eq_u64 s[12:13], 0
	s_cselect_b32 s1, s1, s13
	s_cselect_b32 s0, s0, s12
	s_delay_alu instid0(SALU_CYCLE_1) | instskip(SKIP_1) | instid1(SALU_CYCLE_1)
	v_dual_mov_b32 v25, s1 :: v_dual_mov_b32 v24, s0
	s_and_b64 s[12:13], s[0:1], s[16:17]
	s_mul_u64 s[12:13], s[12:13], 24
	s_wait_loadcnt 0x0
	v_add_nc_u64_e32 v[22:23], s[12:13], v[20:21]
	global_store_b64 v[22:23], v[26:27], off
	global_wb scope:SCOPE_SYS
	s_wait_storecnt 0x0
	s_wait_xcnt 0x0
	global_atomic_cmpswap_b64 v[20:21], v1, v[24:27], s[8:9] offset:24 th:TH_ATOMIC_RETURN scope:SCOPE_SYS
	s_wait_loadcnt 0x0
	v_cmp_ne_u64_e32 vcc_lo, v[20:21], v[26:27]
	s_wait_xcnt 0x0
	s_and_b32 exec_lo, exec_lo, vcc_lo
	s_cbranch_execz .LBB11_187
; %bb.185:                              ;   in Loop: Header=BB11_2 Depth=1
	s_mov_b32 s12, 0
.LBB11_186:                             ;   Parent Loop BB11_2 Depth=1
                                        ; =>  This Inner Loop Header: Depth=2
	v_dual_mov_b32 v18, s0 :: v_dual_mov_b32 v19, s1
	s_sleep 1
	global_store_b64 v[22:23], v[20:21], off
	global_wb scope:SCOPE_SYS
	s_wait_storecnt 0x0
	s_wait_xcnt 0x0
	global_atomic_cmpswap_b64 v[18:19], v1, v[18:21], s[8:9] offset:24 th:TH_ATOMIC_RETURN scope:SCOPE_SYS
	s_wait_loadcnt 0x0
	v_cmp_eq_u64_e32 vcc_lo, v[18:19], v[20:21]
	s_wait_xcnt 0x0
	v_mov_b64_e32 v[20:21], v[18:19]
	s_or_b32 s12, vcc_lo, s12
	s_delay_alu instid0(SALU_CYCLE_1)
	s_and_not1_b32 exec_lo, exec_lo, s12
	s_cbranch_execnz .LBB11_186
.LBB11_187:                             ;   in Loop: Header=BB11_2 Depth=1
	s_or_b32 exec_lo, exec_lo, s14
	v_readfirstlane_b32 s0, v38
	v_mov_b64_e32 v[18:19], 0
	s_delay_alu instid0(VALU_DEP_2)
	v_cmp_eq_u32_e64 s0, s0, v38
	s_and_saveexec_b32 s1, s0
	s_cbranch_execz .LBB11_193
; %bb.188:                              ;   in Loop: Header=BB11_2 Depth=1
	global_load_b64 v[20:21], v1, s[8:9] offset:24 scope:SCOPE_SYS
	s_wait_loadcnt 0x0
	global_inv scope:SCOPE_SYS
	s_clause 0x1
	global_load_b64 v[18:19], v1, s[8:9] offset:40
	global_load_b64 v[22:23], v1, s[8:9]
	s_mov_b32 s12, exec_lo
	s_wait_loadcnt 0x1
	v_and_b32_e32 v18, v18, v20
	v_and_b32_e32 v19, v19, v21
	s_delay_alu instid0(VALU_DEP_1) | instskip(SKIP_1) | instid1(VALU_DEP_1)
	v_mul_u64_e32 v[18:19], 24, v[18:19]
	s_wait_loadcnt 0x0
	v_add_nc_u64_e32 v[18:19], v[22:23], v[18:19]
	global_load_b64 v[18:19], v[18:19], off scope:SCOPE_SYS
	s_wait_xcnt 0x0
	s_wait_loadcnt 0x0
	global_atomic_cmpswap_b64 v[18:19], v1, v[18:21], s[8:9] offset:24 th:TH_ATOMIC_RETURN scope:SCOPE_SYS
	s_wait_loadcnt 0x0
	global_inv scope:SCOPE_SYS
	s_wait_xcnt 0x0
	v_cmpx_ne_u64_e64 v[18:19], v[20:21]
	s_cbranch_execz .LBB11_192
; %bb.189:                              ;   in Loop: Header=BB11_2 Depth=1
	s_mov_b32 s13, 0
.LBB11_190:                             ;   Parent Loop BB11_2 Depth=1
                                        ; =>  This Inner Loop Header: Depth=2
	s_sleep 1
	s_clause 0x1
	global_load_b64 v[22:23], v1, s[8:9] offset:40
	global_load_b64 v[24:25], v1, s[8:9]
	v_mov_b64_e32 v[20:21], v[18:19]
	s_wait_loadcnt 0x1
	s_delay_alu instid0(VALU_DEP_1) | instskip(SKIP_1) | instid1(VALU_DEP_1)
	v_and_b32_e32 v0, v22, v20
	s_wait_loadcnt 0x0
	v_mad_nc_u64_u32 v[18:19], v0, 24, v[24:25]
	s_delay_alu instid0(VALU_DEP_3) | instskip(NEXT) | instid1(VALU_DEP_1)
	v_and_b32_e32 v0, v23, v21
	v_mad_u32 v19, v0, 24, v19
	global_load_b64 v[18:19], v[18:19], off scope:SCOPE_SYS
	s_wait_xcnt 0x0
	s_wait_loadcnt 0x0
	global_atomic_cmpswap_b64 v[18:19], v1, v[18:21], s[8:9] offset:24 th:TH_ATOMIC_RETURN scope:SCOPE_SYS
	s_wait_loadcnt 0x0
	global_inv scope:SCOPE_SYS
	v_cmp_eq_u64_e32 vcc_lo, v[18:19], v[20:21]
	s_or_b32 s13, vcc_lo, s13
	s_wait_xcnt 0x0
	s_and_not1_b32 exec_lo, exec_lo, s13
	s_cbranch_execnz .LBB11_190
; %bb.191:                              ;   in Loop: Header=BB11_2 Depth=1
	s_or_b32 exec_lo, exec_lo, s13
.LBB11_192:                             ;   in Loop: Header=BB11_2 Depth=1
	s_delay_alu instid0(SALU_CYCLE_1)
	s_or_b32 exec_lo, exec_lo, s12
.LBB11_193:                             ;   in Loop: Header=BB11_2 Depth=1
	s_delay_alu instid0(SALU_CYCLE_1)
	s_or_b32 exec_lo, exec_lo, s1
	s_clause 0x1
	global_load_b64 v[24:25], v1, s[8:9] offset:40
	global_load_b128 v[20:23], v1, s[8:9]
	v_readfirstlane_b32 s12, v18
	v_readfirstlane_b32 s13, v19
	s_mov_b32 s1, exec_lo
	s_wait_loadcnt 0x1
	v_and_b32_e32 v18, s12, v24
	v_and_b32_e32 v19, s13, v25
	s_delay_alu instid0(VALU_DEP_1) | instskip(SKIP_1) | instid1(VALU_DEP_1)
	v_mul_u64_e32 v[24:25], 24, v[18:19]
	s_wait_loadcnt 0x0
	v_add_nc_u64_e32 v[24:25], v[20:21], v[24:25]
	s_wait_xcnt 0x0
	s_and_saveexec_b32 s14, s0
	s_cbranch_execz .LBB11_195
; %bb.194:                              ;   in Loop: Header=BB11_2 Depth=1
	v_mov_b32_e32 v0, s1
	global_store_b128 v[24:25], v[0:3], off offset:8
.LBB11_195:                             ;   in Loop: Header=BB11_2 Depth=1
	s_wait_xcnt 0x0
	s_or_b32 exec_lo, exec_lo, s14
	v_lshlrev_b64_e32 v[18:19], 12, v[18:19]
	v_mov_b64_e32 v[28:29], s[6:7]
	v_mov_b64_e32 v[26:27], s[4:5]
	v_and_or_b32 v16, 0xffffff1f, v16, 32
	s_delay_alu instid0(VALU_DEP_4) | instskip(SKIP_2) | instid1(VALU_DEP_3)
	v_add_nc_u64_e32 v[22:23], v[22:23], v[18:19]
	v_and_b32_e32 v18, 0xff, v43
	v_mov_b32_e32 v19, v1
	v_readfirstlane_b32 s14, v22
	s_delay_alu instid0(VALU_DEP_4)
	v_readfirstlane_b32 s15, v23
	s_clause 0x3
	global_store_b128 v40, v[16:19], s[14:15]
	global_store_b128 v40, v[26:29], s[14:15] offset:16
	global_store_b128 v40, v[26:29], s[14:15] offset:32
	;; [unrolled: 1-line block ×3, first 2 shown]
	s_wait_xcnt 0x0
	s_and_saveexec_b32 s1, s0
	s_cbranch_execz .LBB11_203
; %bb.196:                              ;   in Loop: Header=BB11_2 Depth=1
	s_clause 0x1
	global_load_b64 v[28:29], v1, s[8:9] offset:32 scope:SCOPE_SYS
	global_load_b64 v[16:17], v1, s[8:9] offset:40
	s_mov_b32 s14, exec_lo
	v_dual_mov_b32 v26, s12 :: v_dual_mov_b32 v27, s13
	s_wait_loadcnt 0x0
	v_and_b32_e32 v17, s13, v17
	v_and_b32_e32 v16, s12, v16
	s_delay_alu instid0(VALU_DEP_1) | instskip(NEXT) | instid1(VALU_DEP_1)
	v_mul_u64_e32 v[16:17], 24, v[16:17]
	v_add_nc_u64_e32 v[20:21], v[20:21], v[16:17]
	global_store_b64 v[20:21], v[28:29], off
	global_wb scope:SCOPE_SYS
	s_wait_storecnt 0x0
	s_wait_xcnt 0x0
	global_atomic_cmpswap_b64 v[18:19], v1, v[26:29], s[8:9] offset:32 th:TH_ATOMIC_RETURN scope:SCOPE_SYS
	s_wait_loadcnt 0x0
	s_wait_xcnt 0x0
	v_cmpx_ne_u64_e64 v[18:19], v[28:29]
	s_cbranch_execz .LBB11_199
; %bb.197:                              ;   in Loop: Header=BB11_2 Depth=1
	s_mov_b32 s15, 0
.LBB11_198:                             ;   Parent Loop BB11_2 Depth=1
                                        ; =>  This Inner Loop Header: Depth=2
	v_dual_mov_b32 v16, s12 :: v_dual_mov_b32 v17, s13
	s_sleep 1
	global_store_b64 v[20:21], v[18:19], off
	global_wb scope:SCOPE_SYS
	s_wait_storecnt 0x0
	s_wait_xcnt 0x0
	global_atomic_cmpswap_b64 v[16:17], v1, v[16:19], s[8:9] offset:32 th:TH_ATOMIC_RETURN scope:SCOPE_SYS
	s_wait_loadcnt 0x0
	v_cmp_eq_u64_e32 vcc_lo, v[16:17], v[18:19]
	s_wait_xcnt 0x0
	v_mov_b64_e32 v[18:19], v[16:17]
	s_or_b32 s15, vcc_lo, s15
	s_delay_alu instid0(SALU_CYCLE_1)
	s_and_not1_b32 exec_lo, exec_lo, s15
	s_cbranch_execnz .LBB11_198
.LBB11_199:                             ;   in Loop: Header=BB11_2 Depth=1
	s_or_b32 exec_lo, exec_lo, s14
	global_load_b64 v[16:17], v1, s[8:9] offset:16
	s_mov_b32 s15, exec_lo
	s_mov_b32 s14, exec_lo
	v_mbcnt_lo_u32_b32 v0, s15, 0
	s_wait_xcnt 0x0
	s_delay_alu instid0(VALU_DEP_1)
	v_cmpx_eq_u32_e32 0, v0
	s_cbranch_execz .LBB11_201
; %bb.200:                              ;   in Loop: Header=BB11_2 Depth=1
	s_bcnt1_i32_b32 s15, s15
	s_delay_alu instid0(SALU_CYCLE_1)
	v_mov_b32_e32 v0, s15
	global_wb scope:SCOPE_SYS
	s_wait_loadcnt 0x0
	s_wait_storecnt 0x0
	global_atomic_add_u64 v[16:17], v[0:1], off offset:8 scope:SCOPE_SYS
.LBB11_201:                             ;   in Loop: Header=BB11_2 Depth=1
	s_wait_xcnt 0x0
	s_or_b32 exec_lo, exec_lo, s14
	s_wait_loadcnt 0x0
	global_load_b64 v[18:19], v[16:17], off offset:16
	s_wait_loadcnt 0x0
	v_cmp_eq_u64_e32 vcc_lo, 0, v[18:19]
	s_cbranch_vccnz .LBB11_203
; %bb.202:                              ;   in Loop: Header=BB11_2 Depth=1
	global_load_b32 v0, v[16:17], off offset:24
	s_wait_loadcnt 0x0
	v_readfirstlane_b32 s14, v0
	global_wb scope:SCOPE_SYS
	s_wait_storecnt 0x0
	s_wait_xcnt 0x0
	global_store_b64 v[18:19], v[0:1], off scope:SCOPE_SYS
	s_and_b32 m0, s14, 0xffffff
	s_sendmsg sendmsg(MSG_INTERRUPT)
.LBB11_203:                             ;   in Loop: Header=BB11_2 Depth=1
	s_wait_xcnt 0x0
	s_or_b32 exec_lo, exec_lo, s1
	v_mov_b32_e32 v41, v1
	s_delay_alu instid0(VALU_DEP_1)
	v_add_nc_u64_e32 v[16:17], v[22:23], v[40:41]
	s_branch .LBB11_207
.LBB11_204:                             ;   in Loop: Header=BB11_207 Depth=2
	s_wait_xcnt 0x0
	s_or_b32 exec_lo, exec_lo, s1
	s_delay_alu instid0(VALU_DEP_1)
	v_readfirstlane_b32 s1, v0
	s_cmp_eq_u32 s1, 0
	s_cbranch_scc1 .LBB11_206
; %bb.205:                              ;   in Loop: Header=BB11_207 Depth=2
	s_sleep 1
	s_cbranch_execnz .LBB11_207
	s_branch .LBB11_209
.LBB11_206:                             ;   in Loop: Header=BB11_2 Depth=1
	s_branch .LBB11_209
.LBB11_207:                             ;   Parent Loop BB11_2 Depth=1
                                        ; =>  This Inner Loop Header: Depth=2
	v_mov_b32_e32 v0, 1
	s_and_saveexec_b32 s1, s0
	s_cbranch_execz .LBB11_204
; %bb.208:                              ;   in Loop: Header=BB11_207 Depth=2
	global_load_b32 v0, v[24:25], off offset:20 scope:SCOPE_SYS
	s_wait_loadcnt 0x0
	global_inv scope:SCOPE_SYS
	v_and_b32_e32 v0, 1, v0
	s_branch .LBB11_204
.LBB11_209:                             ;   in Loop: Header=BB11_2 Depth=1
	global_load_b64 v[16:17], v[16:17], off
	s_wait_xcnt 0x0
	s_and_saveexec_b32 s14, s0
	s_cbranch_execz .LBB11_213
; %bb.210:                              ;   in Loop: Header=BB11_2 Depth=1
	s_clause 0x2
	global_load_b64 v[18:19], v1, s[8:9] offset:40
	global_load_b64 v[26:27], v1, s[8:9] offset:24 scope:SCOPE_SYS
	global_load_b64 v[20:21], v1, s[8:9]
	s_wait_loadcnt 0x2
	v_readfirstlane_b32 s16, v18
	v_readfirstlane_b32 s17, v19
	s_add_nc_u64 s[0:1], s[16:17], 1
	s_delay_alu instid0(SALU_CYCLE_1) | instskip(NEXT) | instid1(SALU_CYCLE_1)
	s_add_nc_u64 s[12:13], s[0:1], s[12:13]
	s_cmp_eq_u64 s[12:13], 0
	s_cselect_b32 s1, s1, s13
	s_cselect_b32 s0, s0, s12
	s_delay_alu instid0(SALU_CYCLE_1) | instskip(SKIP_1) | instid1(SALU_CYCLE_1)
	v_dual_mov_b32 v25, s1 :: v_dual_mov_b32 v24, s0
	s_and_b64 s[12:13], s[0:1], s[16:17]
	s_mul_u64 s[12:13], s[12:13], 24
	s_wait_loadcnt 0x0
	v_add_nc_u64_e32 v[22:23], s[12:13], v[20:21]
	global_store_b64 v[22:23], v[26:27], off
	global_wb scope:SCOPE_SYS
	s_wait_storecnt 0x0
	s_wait_xcnt 0x0
	global_atomic_cmpswap_b64 v[20:21], v1, v[24:27], s[8:9] offset:24 th:TH_ATOMIC_RETURN scope:SCOPE_SYS
	s_wait_loadcnt 0x0
	v_cmp_ne_u64_e32 vcc_lo, v[20:21], v[26:27]
	s_wait_xcnt 0x0
	s_and_b32 exec_lo, exec_lo, vcc_lo
	s_cbranch_execz .LBB11_213
; %bb.211:                              ;   in Loop: Header=BB11_2 Depth=1
	s_mov_b32 s12, 0
.LBB11_212:                             ;   Parent Loop BB11_2 Depth=1
                                        ; =>  This Inner Loop Header: Depth=2
	v_dual_mov_b32 v18, s0 :: v_dual_mov_b32 v19, s1
	s_sleep 1
	global_store_b64 v[22:23], v[20:21], off
	global_wb scope:SCOPE_SYS
	s_wait_storecnt 0x0
	s_wait_xcnt 0x0
	global_atomic_cmpswap_b64 v[18:19], v1, v[18:21], s[8:9] offset:24 th:TH_ATOMIC_RETURN scope:SCOPE_SYS
	s_wait_loadcnt 0x0
	v_cmp_eq_u64_e32 vcc_lo, v[18:19], v[20:21]
	s_wait_xcnt 0x0
	v_mov_b64_e32 v[20:21], v[18:19]
	s_or_b32 s12, vcc_lo, s12
	s_delay_alu instid0(SALU_CYCLE_1)
	s_and_not1_b32 exec_lo, exec_lo, s12
	s_cbranch_execnz .LBB11_212
.LBB11_213:                             ;   in Loop: Header=BB11_2 Depth=1
	s_or_b32 exec_lo, exec_lo, s14
	v_readfirstlane_b32 s0, v38
	v_mov_b64_e32 v[18:19], 0
	s_delay_alu instid0(VALU_DEP_2)
	v_cmp_eq_u32_e64 s0, s0, v38
	s_and_saveexec_b32 s1, s0
	s_cbranch_execz .LBB11_219
; %bb.214:                              ;   in Loop: Header=BB11_2 Depth=1
	global_load_b64 v[20:21], v1, s[8:9] offset:24 scope:SCOPE_SYS
	s_wait_loadcnt 0x0
	global_inv scope:SCOPE_SYS
	s_clause 0x1
	global_load_b64 v[18:19], v1, s[8:9] offset:40
	global_load_b64 v[22:23], v1, s[8:9]
	s_mov_b32 s12, exec_lo
	s_wait_loadcnt 0x1
	v_and_b32_e32 v18, v18, v20
	v_and_b32_e32 v19, v19, v21
	s_delay_alu instid0(VALU_DEP_1) | instskip(SKIP_1) | instid1(VALU_DEP_1)
	v_mul_u64_e32 v[18:19], 24, v[18:19]
	s_wait_loadcnt 0x0
	v_add_nc_u64_e32 v[18:19], v[22:23], v[18:19]
	global_load_b64 v[18:19], v[18:19], off scope:SCOPE_SYS
	s_wait_xcnt 0x0
	s_wait_loadcnt 0x0
	global_atomic_cmpswap_b64 v[18:19], v1, v[18:21], s[8:9] offset:24 th:TH_ATOMIC_RETURN scope:SCOPE_SYS
	s_wait_loadcnt 0x0
	global_inv scope:SCOPE_SYS
	s_wait_xcnt 0x0
	v_cmpx_ne_u64_e64 v[18:19], v[20:21]
	s_cbranch_execz .LBB11_218
; %bb.215:                              ;   in Loop: Header=BB11_2 Depth=1
	s_mov_b32 s13, 0
.LBB11_216:                             ;   Parent Loop BB11_2 Depth=1
                                        ; =>  This Inner Loop Header: Depth=2
	s_sleep 1
	s_clause 0x1
	global_load_b64 v[22:23], v1, s[8:9] offset:40
	global_load_b64 v[24:25], v1, s[8:9]
	v_mov_b64_e32 v[20:21], v[18:19]
	s_wait_loadcnt 0x1
	s_delay_alu instid0(VALU_DEP_1) | instskip(SKIP_1) | instid1(VALU_DEP_1)
	v_and_b32_e32 v0, v22, v20
	s_wait_loadcnt 0x0
	v_mad_nc_u64_u32 v[18:19], v0, 24, v[24:25]
	s_delay_alu instid0(VALU_DEP_3) | instskip(NEXT) | instid1(VALU_DEP_1)
	v_and_b32_e32 v0, v23, v21
	v_mad_u32 v19, v0, 24, v19
	global_load_b64 v[18:19], v[18:19], off scope:SCOPE_SYS
	s_wait_xcnt 0x0
	s_wait_loadcnt 0x0
	global_atomic_cmpswap_b64 v[18:19], v1, v[18:21], s[8:9] offset:24 th:TH_ATOMIC_RETURN scope:SCOPE_SYS
	s_wait_loadcnt 0x0
	global_inv scope:SCOPE_SYS
	v_cmp_eq_u64_e32 vcc_lo, v[18:19], v[20:21]
	s_or_b32 s13, vcc_lo, s13
	s_wait_xcnt 0x0
	s_and_not1_b32 exec_lo, exec_lo, s13
	s_cbranch_execnz .LBB11_216
; %bb.217:                              ;   in Loop: Header=BB11_2 Depth=1
	s_or_b32 exec_lo, exec_lo, s13
.LBB11_218:                             ;   in Loop: Header=BB11_2 Depth=1
	s_delay_alu instid0(SALU_CYCLE_1)
	s_or_b32 exec_lo, exec_lo, s12
.LBB11_219:                             ;   in Loop: Header=BB11_2 Depth=1
	s_delay_alu instid0(SALU_CYCLE_1)
	s_or_b32 exec_lo, exec_lo, s1
	s_clause 0x1
	global_load_b64 v[24:25], v1, s[8:9] offset:40
	global_load_b128 v[20:23], v1, s[8:9]
	v_readfirstlane_b32 s12, v18
	v_readfirstlane_b32 s13, v19
	s_mov_b32 s1, exec_lo
	s_wait_loadcnt 0x1
	v_and_b32_e32 v18, s12, v24
	v_and_b32_e32 v19, s13, v25
	s_delay_alu instid0(VALU_DEP_1) | instskip(SKIP_1) | instid1(VALU_DEP_1)
	v_mul_u64_e32 v[24:25], 24, v[18:19]
	s_wait_loadcnt 0x0
	v_add_nc_u64_e32 v[24:25], v[20:21], v[24:25]
	s_wait_xcnt 0x0
	s_and_saveexec_b32 s14, s0
	s_cbranch_execz .LBB11_221
; %bb.220:                              ;   in Loop: Header=BB11_2 Depth=1
	v_mov_b32_e32 v0, s1
	global_store_b128 v[24:25], v[0:3], off offset:8
.LBB11_221:                             ;   in Loop: Header=BB11_2 Depth=1
	s_wait_xcnt 0x0
	s_or_b32 exec_lo, exec_lo, s14
	v_lshlrev_b64_e32 v[18:19], 12, v[18:19]
	v_mov_b64_e32 v[28:29], s[6:7]
	v_mov_b64_e32 v[26:27], s[4:5]
	v_and_or_b32 v16, 0xffffff1f, v16, 32
	s_delay_alu instid0(VALU_DEP_4) | instskip(SKIP_2) | instid1(VALU_DEP_3)
	v_add_nc_u64_e32 v[22:23], v[22:23], v[18:19]
	v_bfe_u32 v18, v39, 27, 4
	v_mov_b32_e32 v19, v1
	v_readfirstlane_b32 s14, v22
	s_delay_alu instid0(VALU_DEP_4)
	v_readfirstlane_b32 s15, v23
	s_clause 0x3
	global_store_b128 v40, v[16:19], s[14:15]
	global_store_b128 v40, v[26:29], s[14:15] offset:16
	global_store_b128 v40, v[26:29], s[14:15] offset:32
	global_store_b128 v40, v[26:29], s[14:15] offset:48
	s_wait_xcnt 0x0
	s_and_saveexec_b32 s1, s0
	s_cbranch_execz .LBB11_229
; %bb.222:                              ;   in Loop: Header=BB11_2 Depth=1
	s_clause 0x1
	global_load_b64 v[28:29], v1, s[8:9] offset:32 scope:SCOPE_SYS
	global_load_b64 v[16:17], v1, s[8:9] offset:40
	s_mov_b32 s14, exec_lo
	v_dual_mov_b32 v26, s12 :: v_dual_mov_b32 v27, s13
	s_wait_loadcnt 0x0
	v_and_b32_e32 v17, s13, v17
	v_and_b32_e32 v16, s12, v16
	s_delay_alu instid0(VALU_DEP_1) | instskip(NEXT) | instid1(VALU_DEP_1)
	v_mul_u64_e32 v[16:17], 24, v[16:17]
	v_add_nc_u64_e32 v[20:21], v[20:21], v[16:17]
	global_store_b64 v[20:21], v[28:29], off
	global_wb scope:SCOPE_SYS
	s_wait_storecnt 0x0
	s_wait_xcnt 0x0
	global_atomic_cmpswap_b64 v[18:19], v1, v[26:29], s[8:9] offset:32 th:TH_ATOMIC_RETURN scope:SCOPE_SYS
	s_wait_loadcnt 0x0
	s_wait_xcnt 0x0
	v_cmpx_ne_u64_e64 v[18:19], v[28:29]
	s_cbranch_execz .LBB11_225
; %bb.223:                              ;   in Loop: Header=BB11_2 Depth=1
	s_mov_b32 s15, 0
.LBB11_224:                             ;   Parent Loop BB11_2 Depth=1
                                        ; =>  This Inner Loop Header: Depth=2
	v_dual_mov_b32 v16, s12 :: v_dual_mov_b32 v17, s13
	s_sleep 1
	global_store_b64 v[20:21], v[18:19], off
	global_wb scope:SCOPE_SYS
	s_wait_storecnt 0x0
	s_wait_xcnt 0x0
	global_atomic_cmpswap_b64 v[16:17], v1, v[16:19], s[8:9] offset:32 th:TH_ATOMIC_RETURN scope:SCOPE_SYS
	s_wait_loadcnt 0x0
	v_cmp_eq_u64_e32 vcc_lo, v[16:17], v[18:19]
	s_wait_xcnt 0x0
	v_mov_b64_e32 v[18:19], v[16:17]
	s_or_b32 s15, vcc_lo, s15
	s_delay_alu instid0(SALU_CYCLE_1)
	s_and_not1_b32 exec_lo, exec_lo, s15
	s_cbranch_execnz .LBB11_224
.LBB11_225:                             ;   in Loop: Header=BB11_2 Depth=1
	s_or_b32 exec_lo, exec_lo, s14
	global_load_b64 v[16:17], v1, s[8:9] offset:16
	s_mov_b32 s15, exec_lo
	s_mov_b32 s14, exec_lo
	v_mbcnt_lo_u32_b32 v0, s15, 0
	s_wait_xcnt 0x0
	s_delay_alu instid0(VALU_DEP_1)
	v_cmpx_eq_u32_e32 0, v0
	s_cbranch_execz .LBB11_227
; %bb.226:                              ;   in Loop: Header=BB11_2 Depth=1
	s_bcnt1_i32_b32 s15, s15
	s_delay_alu instid0(SALU_CYCLE_1)
	v_mov_b32_e32 v0, s15
	global_wb scope:SCOPE_SYS
	s_wait_loadcnt 0x0
	s_wait_storecnt 0x0
	global_atomic_add_u64 v[16:17], v[0:1], off offset:8 scope:SCOPE_SYS
.LBB11_227:                             ;   in Loop: Header=BB11_2 Depth=1
	s_wait_xcnt 0x0
	s_or_b32 exec_lo, exec_lo, s14
	s_wait_loadcnt 0x0
	global_load_b64 v[18:19], v[16:17], off offset:16
	s_wait_loadcnt 0x0
	v_cmp_eq_u64_e32 vcc_lo, 0, v[18:19]
	s_cbranch_vccnz .LBB11_229
; %bb.228:                              ;   in Loop: Header=BB11_2 Depth=1
	global_load_b32 v0, v[16:17], off offset:24
	s_wait_loadcnt 0x0
	v_readfirstlane_b32 s14, v0
	global_wb scope:SCOPE_SYS
	s_wait_storecnt 0x0
	s_wait_xcnt 0x0
	global_store_b64 v[18:19], v[0:1], off scope:SCOPE_SYS
	s_and_b32 m0, s14, 0xffffff
	s_sendmsg sendmsg(MSG_INTERRUPT)
.LBB11_229:                             ;   in Loop: Header=BB11_2 Depth=1
	s_wait_xcnt 0x0
	s_or_b32 exec_lo, exec_lo, s1
	v_mov_b32_e32 v41, v1
	s_delay_alu instid0(VALU_DEP_1)
	v_add_nc_u64_e32 v[16:17], v[22:23], v[40:41]
	s_branch .LBB11_233
.LBB11_230:                             ;   in Loop: Header=BB11_233 Depth=2
	s_wait_xcnt 0x0
	s_or_b32 exec_lo, exec_lo, s1
	s_delay_alu instid0(VALU_DEP_1)
	v_readfirstlane_b32 s1, v0
	s_cmp_eq_u32 s1, 0
	s_cbranch_scc1 .LBB11_232
; %bb.231:                              ;   in Loop: Header=BB11_233 Depth=2
	s_sleep 1
	s_cbranch_execnz .LBB11_233
	s_branch .LBB11_235
.LBB11_232:                             ;   in Loop: Header=BB11_2 Depth=1
	s_branch .LBB11_235
.LBB11_233:                             ;   Parent Loop BB11_2 Depth=1
                                        ; =>  This Inner Loop Header: Depth=2
	v_mov_b32_e32 v0, 1
	s_and_saveexec_b32 s1, s0
	s_cbranch_execz .LBB11_230
; %bb.234:                              ;   in Loop: Header=BB11_233 Depth=2
	global_load_b32 v0, v[24:25], off offset:20 scope:SCOPE_SYS
	s_wait_loadcnt 0x0
	global_inv scope:SCOPE_SYS
	v_and_b32_e32 v0, 1, v0
	s_branch .LBB11_230
.LBB11_235:                             ;   in Loop: Header=BB11_2 Depth=1
	global_load_b64 v[16:17], v[16:17], off
	s_wait_xcnt 0x0
	s_and_saveexec_b32 s14, s0
	s_cbranch_execz .LBB11_239
; %bb.236:                              ;   in Loop: Header=BB11_2 Depth=1
	s_clause 0x2
	global_load_b64 v[18:19], v1, s[8:9] offset:40
	global_load_b64 v[26:27], v1, s[8:9] offset:24 scope:SCOPE_SYS
	global_load_b64 v[20:21], v1, s[8:9]
	s_wait_loadcnt 0x2
	v_readfirstlane_b32 s16, v18
	v_readfirstlane_b32 s17, v19
	s_add_nc_u64 s[0:1], s[16:17], 1
	s_delay_alu instid0(SALU_CYCLE_1) | instskip(NEXT) | instid1(SALU_CYCLE_1)
	s_add_nc_u64 s[12:13], s[0:1], s[12:13]
	s_cmp_eq_u64 s[12:13], 0
	s_cselect_b32 s1, s1, s13
	s_cselect_b32 s0, s0, s12
	s_delay_alu instid0(SALU_CYCLE_1) | instskip(SKIP_1) | instid1(SALU_CYCLE_1)
	v_dual_mov_b32 v25, s1 :: v_dual_mov_b32 v24, s0
	s_and_b64 s[12:13], s[0:1], s[16:17]
	s_mul_u64 s[12:13], s[12:13], 24
	s_wait_loadcnt 0x0
	v_add_nc_u64_e32 v[22:23], s[12:13], v[20:21]
	global_store_b64 v[22:23], v[26:27], off
	global_wb scope:SCOPE_SYS
	s_wait_storecnt 0x0
	s_wait_xcnt 0x0
	global_atomic_cmpswap_b64 v[20:21], v1, v[24:27], s[8:9] offset:24 th:TH_ATOMIC_RETURN scope:SCOPE_SYS
	s_wait_loadcnt 0x0
	v_cmp_ne_u64_e32 vcc_lo, v[20:21], v[26:27]
	s_wait_xcnt 0x0
	s_and_b32 exec_lo, exec_lo, vcc_lo
	s_cbranch_execz .LBB11_239
; %bb.237:                              ;   in Loop: Header=BB11_2 Depth=1
	s_mov_b32 s12, 0
.LBB11_238:                             ;   Parent Loop BB11_2 Depth=1
                                        ; =>  This Inner Loop Header: Depth=2
	v_dual_mov_b32 v18, s0 :: v_dual_mov_b32 v19, s1
	s_sleep 1
	global_store_b64 v[22:23], v[20:21], off
	global_wb scope:SCOPE_SYS
	s_wait_storecnt 0x0
	s_wait_xcnt 0x0
	global_atomic_cmpswap_b64 v[18:19], v1, v[18:21], s[8:9] offset:24 th:TH_ATOMIC_RETURN scope:SCOPE_SYS
	s_wait_loadcnt 0x0
	v_cmp_eq_u64_e32 vcc_lo, v[18:19], v[20:21]
	s_wait_xcnt 0x0
	v_mov_b64_e32 v[20:21], v[18:19]
	s_or_b32 s12, vcc_lo, s12
	s_delay_alu instid0(SALU_CYCLE_1)
	s_and_not1_b32 exec_lo, exec_lo, s12
	s_cbranch_execnz .LBB11_238
.LBB11_239:                             ;   in Loop: Header=BB11_2 Depth=1
	s_or_b32 exec_lo, exec_lo, s14
	v_readfirstlane_b32 s0, v38
	v_mov_b64_e32 v[18:19], 0
	s_delay_alu instid0(VALU_DEP_2)
	v_cmp_eq_u32_e64 s0, s0, v38
	s_and_saveexec_b32 s1, s0
	s_cbranch_execz .LBB11_245
; %bb.240:                              ;   in Loop: Header=BB11_2 Depth=1
	global_load_b64 v[20:21], v1, s[8:9] offset:24 scope:SCOPE_SYS
	s_wait_loadcnt 0x0
	global_inv scope:SCOPE_SYS
	s_clause 0x1
	global_load_b64 v[18:19], v1, s[8:9] offset:40
	global_load_b64 v[22:23], v1, s[8:9]
	s_mov_b32 s12, exec_lo
	s_wait_loadcnt 0x1
	v_and_b32_e32 v18, v18, v20
	v_and_b32_e32 v19, v19, v21
	s_delay_alu instid0(VALU_DEP_1) | instskip(SKIP_1) | instid1(VALU_DEP_1)
	v_mul_u64_e32 v[18:19], 24, v[18:19]
	s_wait_loadcnt 0x0
	v_add_nc_u64_e32 v[18:19], v[22:23], v[18:19]
	global_load_b64 v[18:19], v[18:19], off scope:SCOPE_SYS
	s_wait_xcnt 0x0
	s_wait_loadcnt 0x0
	global_atomic_cmpswap_b64 v[18:19], v1, v[18:21], s[8:9] offset:24 th:TH_ATOMIC_RETURN scope:SCOPE_SYS
	s_wait_loadcnt 0x0
	global_inv scope:SCOPE_SYS
	s_wait_xcnt 0x0
	v_cmpx_ne_u64_e64 v[18:19], v[20:21]
	s_cbranch_execz .LBB11_244
; %bb.241:                              ;   in Loop: Header=BB11_2 Depth=1
	s_mov_b32 s13, 0
.LBB11_242:                             ;   Parent Loop BB11_2 Depth=1
                                        ; =>  This Inner Loop Header: Depth=2
	s_sleep 1
	s_clause 0x1
	global_load_b64 v[22:23], v1, s[8:9] offset:40
	global_load_b64 v[24:25], v1, s[8:9]
	v_mov_b64_e32 v[20:21], v[18:19]
	s_wait_loadcnt 0x1
	s_delay_alu instid0(VALU_DEP_1) | instskip(SKIP_1) | instid1(VALU_DEP_1)
	v_and_b32_e32 v0, v22, v20
	s_wait_loadcnt 0x0
	v_mad_nc_u64_u32 v[18:19], v0, 24, v[24:25]
	s_delay_alu instid0(VALU_DEP_3) | instskip(NEXT) | instid1(VALU_DEP_1)
	v_and_b32_e32 v0, v23, v21
	v_mad_u32 v19, v0, 24, v19
	global_load_b64 v[18:19], v[18:19], off scope:SCOPE_SYS
	s_wait_xcnt 0x0
	s_wait_loadcnt 0x0
	global_atomic_cmpswap_b64 v[18:19], v1, v[18:21], s[8:9] offset:24 th:TH_ATOMIC_RETURN scope:SCOPE_SYS
	s_wait_loadcnt 0x0
	global_inv scope:SCOPE_SYS
	v_cmp_eq_u64_e32 vcc_lo, v[18:19], v[20:21]
	s_or_b32 s13, vcc_lo, s13
	s_wait_xcnt 0x0
	s_and_not1_b32 exec_lo, exec_lo, s13
	s_cbranch_execnz .LBB11_242
; %bb.243:                              ;   in Loop: Header=BB11_2 Depth=1
	s_or_b32 exec_lo, exec_lo, s13
.LBB11_244:                             ;   in Loop: Header=BB11_2 Depth=1
	s_delay_alu instid0(SALU_CYCLE_1)
	s_or_b32 exec_lo, exec_lo, s12
.LBB11_245:                             ;   in Loop: Header=BB11_2 Depth=1
	s_delay_alu instid0(SALU_CYCLE_1)
	s_or_b32 exec_lo, exec_lo, s1
	s_clause 0x1
	global_load_b64 v[24:25], v1, s[8:9] offset:40
	global_load_b128 v[20:23], v1, s[8:9]
	v_readfirstlane_b32 s12, v18
	v_readfirstlane_b32 s13, v19
	s_mov_b32 s1, exec_lo
	s_wait_loadcnt 0x1
	v_and_b32_e32 v18, s12, v24
	v_and_b32_e32 v19, s13, v25
	s_delay_alu instid0(VALU_DEP_1) | instskip(SKIP_1) | instid1(VALU_DEP_1)
	v_mul_u64_e32 v[24:25], 24, v[18:19]
	s_wait_loadcnt 0x0
	v_add_nc_u64_e32 v[24:25], v[20:21], v[24:25]
	s_wait_xcnt 0x0
	s_and_saveexec_b32 s14, s0
	s_cbranch_execz .LBB11_247
; %bb.246:                              ;   in Loop: Header=BB11_2 Depth=1
	v_mov_b32_e32 v0, s1
	global_store_b128 v[24:25], v[0:3], off offset:8
.LBB11_247:                             ;   in Loop: Header=BB11_2 Depth=1
	s_wait_xcnt 0x0
	s_or_b32 exec_lo, exec_lo, s14
	v_lshlrev_b64_e32 v[18:19], 12, v[18:19]
	v_mov_b64_e32 v[28:29], s[6:7]
	v_mov_b64_e32 v[26:27], s[4:5]
	v_and_or_b32 v16, 0xffffff1f, v16, 32
	s_delay_alu instid0(VALU_DEP_4) | instskip(SKIP_1) | instid1(VALU_DEP_2)
	v_add_nc_u64_e32 v[22:23], v[22:23], v[18:19]
	v_dual_mov_b32 v18, v12 :: v_dual_mov_b32 v19, v1
	v_readfirstlane_b32 s14, v22
	s_delay_alu instid0(VALU_DEP_3)
	v_readfirstlane_b32 s15, v23
	s_clause 0x3
	global_store_b128 v40, v[16:19], s[14:15]
	global_store_b128 v40, v[26:29], s[14:15] offset:16
	global_store_b128 v40, v[26:29], s[14:15] offset:32
	global_store_b128 v40, v[26:29], s[14:15] offset:48
	s_wait_xcnt 0x0
	s_and_saveexec_b32 s1, s0
	s_cbranch_execz .LBB11_255
; %bb.248:                              ;   in Loop: Header=BB11_2 Depth=1
	s_clause 0x1
	global_load_b64 v[28:29], v1, s[8:9] offset:32 scope:SCOPE_SYS
	global_load_b64 v[16:17], v1, s[8:9] offset:40
	s_mov_b32 s14, exec_lo
	v_dual_mov_b32 v26, s12 :: v_dual_mov_b32 v27, s13
	s_wait_loadcnt 0x0
	v_and_b32_e32 v17, s13, v17
	v_and_b32_e32 v16, s12, v16
	s_delay_alu instid0(VALU_DEP_1) | instskip(NEXT) | instid1(VALU_DEP_1)
	v_mul_u64_e32 v[16:17], 24, v[16:17]
	v_add_nc_u64_e32 v[20:21], v[20:21], v[16:17]
	global_store_b64 v[20:21], v[28:29], off
	global_wb scope:SCOPE_SYS
	s_wait_storecnt 0x0
	s_wait_xcnt 0x0
	global_atomic_cmpswap_b64 v[18:19], v1, v[26:29], s[8:9] offset:32 th:TH_ATOMIC_RETURN scope:SCOPE_SYS
	s_wait_loadcnt 0x0
	s_wait_xcnt 0x0
	v_cmpx_ne_u64_e64 v[18:19], v[28:29]
	s_cbranch_execz .LBB11_251
; %bb.249:                              ;   in Loop: Header=BB11_2 Depth=1
	s_mov_b32 s15, 0
.LBB11_250:                             ;   Parent Loop BB11_2 Depth=1
                                        ; =>  This Inner Loop Header: Depth=2
	v_dual_mov_b32 v16, s12 :: v_dual_mov_b32 v17, s13
	s_sleep 1
	global_store_b64 v[20:21], v[18:19], off
	global_wb scope:SCOPE_SYS
	s_wait_storecnt 0x0
	s_wait_xcnt 0x0
	global_atomic_cmpswap_b64 v[16:17], v1, v[16:19], s[8:9] offset:32 th:TH_ATOMIC_RETURN scope:SCOPE_SYS
	s_wait_loadcnt 0x0
	v_cmp_eq_u64_e32 vcc_lo, v[16:17], v[18:19]
	s_wait_xcnt 0x0
	v_mov_b64_e32 v[18:19], v[16:17]
	s_or_b32 s15, vcc_lo, s15
	s_delay_alu instid0(SALU_CYCLE_1)
	s_and_not1_b32 exec_lo, exec_lo, s15
	s_cbranch_execnz .LBB11_250
.LBB11_251:                             ;   in Loop: Header=BB11_2 Depth=1
	s_or_b32 exec_lo, exec_lo, s14
	global_load_b64 v[16:17], v1, s[8:9] offset:16
	s_mov_b32 s15, exec_lo
	s_mov_b32 s14, exec_lo
	v_mbcnt_lo_u32_b32 v0, s15, 0
	s_wait_xcnt 0x0
	s_delay_alu instid0(VALU_DEP_1)
	v_cmpx_eq_u32_e32 0, v0
	s_cbranch_execz .LBB11_253
; %bb.252:                              ;   in Loop: Header=BB11_2 Depth=1
	s_bcnt1_i32_b32 s15, s15
	s_delay_alu instid0(SALU_CYCLE_1)
	v_mov_b32_e32 v0, s15
	global_wb scope:SCOPE_SYS
	s_wait_loadcnt 0x0
	s_wait_storecnt 0x0
	global_atomic_add_u64 v[16:17], v[0:1], off offset:8 scope:SCOPE_SYS
.LBB11_253:                             ;   in Loop: Header=BB11_2 Depth=1
	s_wait_xcnt 0x0
	s_or_b32 exec_lo, exec_lo, s14
	s_wait_loadcnt 0x0
	global_load_b64 v[18:19], v[16:17], off offset:16
	s_wait_loadcnt 0x0
	v_cmp_eq_u64_e32 vcc_lo, 0, v[18:19]
	s_cbranch_vccnz .LBB11_255
; %bb.254:                              ;   in Loop: Header=BB11_2 Depth=1
	global_load_b32 v0, v[16:17], off offset:24
	s_wait_loadcnt 0x0
	v_readfirstlane_b32 s14, v0
	global_wb scope:SCOPE_SYS
	s_wait_storecnt 0x0
	s_wait_xcnt 0x0
	global_store_b64 v[18:19], v[0:1], off scope:SCOPE_SYS
	s_and_b32 m0, s14, 0xffffff
	s_sendmsg sendmsg(MSG_INTERRUPT)
.LBB11_255:                             ;   in Loop: Header=BB11_2 Depth=1
	s_wait_xcnt 0x0
	s_or_b32 exec_lo, exec_lo, s1
	v_mov_b32_e32 v41, v1
	s_delay_alu instid0(VALU_DEP_1)
	v_add_nc_u64_e32 v[16:17], v[22:23], v[40:41]
	s_branch .LBB11_259
.LBB11_256:                             ;   in Loop: Header=BB11_259 Depth=2
	s_wait_xcnt 0x0
	s_or_b32 exec_lo, exec_lo, s1
	s_delay_alu instid0(VALU_DEP_1)
	v_readfirstlane_b32 s1, v0
	s_cmp_eq_u32 s1, 0
	s_cbranch_scc1 .LBB11_258
; %bb.257:                              ;   in Loop: Header=BB11_259 Depth=2
	s_sleep 1
	s_cbranch_execnz .LBB11_259
	s_branch .LBB11_261
.LBB11_258:                             ;   in Loop: Header=BB11_2 Depth=1
	s_branch .LBB11_261
.LBB11_259:                             ;   Parent Loop BB11_2 Depth=1
                                        ; =>  This Inner Loop Header: Depth=2
	v_mov_b32_e32 v0, 1
	s_and_saveexec_b32 s1, s0
	s_cbranch_execz .LBB11_256
; %bb.260:                              ;   in Loop: Header=BB11_259 Depth=2
	global_load_b32 v0, v[24:25], off offset:20 scope:SCOPE_SYS
	s_wait_loadcnt 0x0
	global_inv scope:SCOPE_SYS
	v_and_b32_e32 v0, 1, v0
	s_branch .LBB11_256
.LBB11_261:                             ;   in Loop: Header=BB11_2 Depth=1
	global_load_b64 v[16:17], v[16:17], off
	s_wait_xcnt 0x0
	s_and_saveexec_b32 s14, s0
	s_cbranch_execz .LBB11_265
; %bb.262:                              ;   in Loop: Header=BB11_2 Depth=1
	s_clause 0x2
	global_load_b64 v[18:19], v1, s[8:9] offset:40
	global_load_b64 v[26:27], v1, s[8:9] offset:24 scope:SCOPE_SYS
	global_load_b64 v[20:21], v1, s[8:9]
	s_wait_loadcnt 0x2
	v_readfirstlane_b32 s16, v18
	v_readfirstlane_b32 s17, v19
	s_add_nc_u64 s[0:1], s[16:17], 1
	s_delay_alu instid0(SALU_CYCLE_1) | instskip(NEXT) | instid1(SALU_CYCLE_1)
	s_add_nc_u64 s[12:13], s[0:1], s[12:13]
	s_cmp_eq_u64 s[12:13], 0
	s_cselect_b32 s1, s1, s13
	s_cselect_b32 s0, s0, s12
	s_delay_alu instid0(SALU_CYCLE_1) | instskip(SKIP_1) | instid1(SALU_CYCLE_1)
	v_dual_mov_b32 v25, s1 :: v_dual_mov_b32 v24, s0
	s_and_b64 s[12:13], s[0:1], s[16:17]
	s_mul_u64 s[12:13], s[12:13], 24
	s_wait_loadcnt 0x0
	v_add_nc_u64_e32 v[22:23], s[12:13], v[20:21]
	global_store_b64 v[22:23], v[26:27], off
	global_wb scope:SCOPE_SYS
	s_wait_storecnt 0x0
	s_wait_xcnt 0x0
	global_atomic_cmpswap_b64 v[20:21], v1, v[24:27], s[8:9] offset:24 th:TH_ATOMIC_RETURN scope:SCOPE_SYS
	s_wait_loadcnt 0x0
	v_cmp_ne_u64_e32 vcc_lo, v[20:21], v[26:27]
	s_wait_xcnt 0x0
	s_and_b32 exec_lo, exec_lo, vcc_lo
	s_cbranch_execz .LBB11_265
; %bb.263:                              ;   in Loop: Header=BB11_2 Depth=1
	s_mov_b32 s12, 0
.LBB11_264:                             ;   Parent Loop BB11_2 Depth=1
                                        ; =>  This Inner Loop Header: Depth=2
	v_dual_mov_b32 v18, s0 :: v_dual_mov_b32 v19, s1
	s_sleep 1
	global_store_b64 v[22:23], v[20:21], off
	global_wb scope:SCOPE_SYS
	s_wait_storecnt 0x0
	s_wait_xcnt 0x0
	global_atomic_cmpswap_b64 v[18:19], v1, v[18:21], s[8:9] offset:24 th:TH_ATOMIC_RETURN scope:SCOPE_SYS
	s_wait_loadcnt 0x0
	v_cmp_eq_u64_e32 vcc_lo, v[18:19], v[20:21]
	s_wait_xcnt 0x0
	v_mov_b64_e32 v[20:21], v[18:19]
	s_or_b32 s12, vcc_lo, s12
	s_delay_alu instid0(SALU_CYCLE_1)
	s_and_not1_b32 exec_lo, exec_lo, s12
	s_cbranch_execnz .LBB11_264
.LBB11_265:                             ;   in Loop: Header=BB11_2 Depth=1
	s_or_b32 exec_lo, exec_lo, s14
	v_readfirstlane_b32 s0, v38
	v_mov_b64_e32 v[18:19], 0
	s_delay_alu instid0(VALU_DEP_2)
	v_cmp_eq_u32_e64 s0, s0, v38
	s_and_saveexec_b32 s1, s0
	s_cbranch_execz .LBB11_271
; %bb.266:                              ;   in Loop: Header=BB11_2 Depth=1
	global_load_b64 v[20:21], v1, s[8:9] offset:24 scope:SCOPE_SYS
	s_wait_loadcnt 0x0
	global_inv scope:SCOPE_SYS
	s_clause 0x1
	global_load_b64 v[18:19], v1, s[8:9] offset:40
	global_load_b64 v[22:23], v1, s[8:9]
	s_mov_b32 s12, exec_lo
	s_wait_loadcnt 0x1
	v_and_b32_e32 v18, v18, v20
	v_and_b32_e32 v19, v19, v21
	s_delay_alu instid0(VALU_DEP_1) | instskip(SKIP_1) | instid1(VALU_DEP_1)
	v_mul_u64_e32 v[18:19], 24, v[18:19]
	s_wait_loadcnt 0x0
	v_add_nc_u64_e32 v[18:19], v[22:23], v[18:19]
	global_load_b64 v[18:19], v[18:19], off scope:SCOPE_SYS
	s_wait_xcnt 0x0
	s_wait_loadcnt 0x0
	global_atomic_cmpswap_b64 v[18:19], v1, v[18:21], s[8:9] offset:24 th:TH_ATOMIC_RETURN scope:SCOPE_SYS
	s_wait_loadcnt 0x0
	global_inv scope:SCOPE_SYS
	s_wait_xcnt 0x0
	v_cmpx_ne_u64_e64 v[18:19], v[20:21]
	s_cbranch_execz .LBB11_270
; %bb.267:                              ;   in Loop: Header=BB11_2 Depth=1
	s_mov_b32 s13, 0
.LBB11_268:                             ;   Parent Loop BB11_2 Depth=1
                                        ; =>  This Inner Loop Header: Depth=2
	s_sleep 1
	s_clause 0x1
	global_load_b64 v[22:23], v1, s[8:9] offset:40
	global_load_b64 v[24:25], v1, s[8:9]
	v_mov_b64_e32 v[20:21], v[18:19]
	s_wait_loadcnt 0x1
	s_delay_alu instid0(VALU_DEP_1) | instskip(SKIP_1) | instid1(VALU_DEP_1)
	v_and_b32_e32 v0, v22, v20
	s_wait_loadcnt 0x0
	v_mad_nc_u64_u32 v[18:19], v0, 24, v[24:25]
	s_delay_alu instid0(VALU_DEP_3) | instskip(NEXT) | instid1(VALU_DEP_1)
	v_and_b32_e32 v0, v23, v21
	v_mad_u32 v19, v0, 24, v19
	global_load_b64 v[18:19], v[18:19], off scope:SCOPE_SYS
	s_wait_xcnt 0x0
	s_wait_loadcnt 0x0
	global_atomic_cmpswap_b64 v[18:19], v1, v[18:21], s[8:9] offset:24 th:TH_ATOMIC_RETURN scope:SCOPE_SYS
	s_wait_loadcnt 0x0
	global_inv scope:SCOPE_SYS
	v_cmp_eq_u64_e32 vcc_lo, v[18:19], v[20:21]
	s_or_b32 s13, vcc_lo, s13
	s_wait_xcnt 0x0
	s_and_not1_b32 exec_lo, exec_lo, s13
	s_cbranch_execnz .LBB11_268
; %bb.269:                              ;   in Loop: Header=BB11_2 Depth=1
	s_or_b32 exec_lo, exec_lo, s13
.LBB11_270:                             ;   in Loop: Header=BB11_2 Depth=1
	s_delay_alu instid0(SALU_CYCLE_1)
	s_or_b32 exec_lo, exec_lo, s12
.LBB11_271:                             ;   in Loop: Header=BB11_2 Depth=1
	s_delay_alu instid0(SALU_CYCLE_1)
	s_or_b32 exec_lo, exec_lo, s1
	s_clause 0x1
	global_load_b64 v[24:25], v1, s[8:9] offset:40
	global_load_b128 v[20:23], v1, s[8:9]
	v_readfirstlane_b32 s12, v18
	v_readfirstlane_b32 s13, v19
	s_mov_b32 s1, exec_lo
	s_wait_loadcnt 0x1
	v_and_b32_e32 v18, s12, v24
	v_and_b32_e32 v19, s13, v25
	s_delay_alu instid0(VALU_DEP_1) | instskip(SKIP_1) | instid1(VALU_DEP_1)
	v_mul_u64_e32 v[24:25], 24, v[18:19]
	s_wait_loadcnt 0x0
	v_add_nc_u64_e32 v[24:25], v[20:21], v[24:25]
	s_wait_xcnt 0x0
	s_and_saveexec_b32 s14, s0
	s_cbranch_execz .LBB11_273
; %bb.272:                              ;   in Loop: Header=BB11_2 Depth=1
	v_mov_b32_e32 v0, s1
	global_store_b128 v[24:25], v[0:3], off offset:8
.LBB11_273:                             ;   in Loop: Header=BB11_2 Depth=1
	s_wait_xcnt 0x0
	s_or_b32 exec_lo, exec_lo, s14
	v_lshlrev_b64_e32 v[18:19], 12, v[18:19]
	v_mov_b64_e32 v[28:29], s[6:7]
	v_mov_b64_e32 v[26:27], s[4:5]
	v_and_or_b32 v16, 0xffffff1f, v16, 32
	s_delay_alu instid0(VALU_DEP_4) | instskip(SKIP_1) | instid1(VALU_DEP_2)
	v_add_nc_u64_e32 v[22:23], v[22:23], v[18:19]
	v_dual_mov_b32 v18, v13 :: v_dual_mov_b32 v19, v1
	v_readfirstlane_b32 s14, v22
	s_delay_alu instid0(VALU_DEP_3)
	v_readfirstlane_b32 s15, v23
	s_clause 0x3
	global_store_b128 v40, v[16:19], s[14:15]
	global_store_b128 v40, v[26:29], s[14:15] offset:16
	global_store_b128 v40, v[26:29], s[14:15] offset:32
	;; [unrolled: 1-line block ×3, first 2 shown]
	s_wait_xcnt 0x0
	s_and_saveexec_b32 s1, s0
	s_cbranch_execz .LBB11_281
; %bb.274:                              ;   in Loop: Header=BB11_2 Depth=1
	s_clause 0x1
	global_load_b64 v[28:29], v1, s[8:9] offset:32 scope:SCOPE_SYS
	global_load_b64 v[12:13], v1, s[8:9] offset:40
	s_mov_b32 s14, exec_lo
	v_dual_mov_b32 v26, s12 :: v_dual_mov_b32 v27, s13
	s_wait_loadcnt 0x0
	v_and_b32_e32 v13, s13, v13
	v_and_b32_e32 v12, s12, v12
	s_delay_alu instid0(VALU_DEP_1) | instskip(NEXT) | instid1(VALU_DEP_1)
	v_mul_u64_e32 v[12:13], 24, v[12:13]
	v_add_nc_u64_e32 v[12:13], v[20:21], v[12:13]
	global_store_b64 v[12:13], v[28:29], off
	global_wb scope:SCOPE_SYS
	s_wait_storecnt 0x0
	s_wait_xcnt 0x0
	global_atomic_cmpswap_b64 v[18:19], v1, v[26:29], s[8:9] offset:32 th:TH_ATOMIC_RETURN scope:SCOPE_SYS
	s_wait_loadcnt 0x0
	s_wait_xcnt 0x0
	v_cmpx_ne_u64_e64 v[18:19], v[28:29]
	s_cbranch_execz .LBB11_277
; %bb.275:                              ;   in Loop: Header=BB11_2 Depth=1
	s_mov_b32 s15, 0
.LBB11_276:                             ;   Parent Loop BB11_2 Depth=1
                                        ; =>  This Inner Loop Header: Depth=2
	v_dual_mov_b32 v16, s12 :: v_dual_mov_b32 v17, s13
	s_sleep 1
	global_store_b64 v[12:13], v[18:19], off
	global_wb scope:SCOPE_SYS
	s_wait_storecnt 0x0
	s_wait_xcnt 0x0
	global_atomic_cmpswap_b64 v[16:17], v1, v[16:19], s[8:9] offset:32 th:TH_ATOMIC_RETURN scope:SCOPE_SYS
	s_wait_loadcnt 0x0
	v_cmp_eq_u64_e32 vcc_lo, v[16:17], v[18:19]
	s_wait_xcnt 0x0
	v_mov_b64_e32 v[18:19], v[16:17]
	s_or_b32 s15, vcc_lo, s15
	s_delay_alu instid0(SALU_CYCLE_1)
	s_and_not1_b32 exec_lo, exec_lo, s15
	s_cbranch_execnz .LBB11_276
.LBB11_277:                             ;   in Loop: Header=BB11_2 Depth=1
	s_or_b32 exec_lo, exec_lo, s14
	global_load_b64 v[12:13], v1, s[8:9] offset:16
	s_mov_b32 s15, exec_lo
	s_mov_b32 s14, exec_lo
	v_mbcnt_lo_u32_b32 v0, s15, 0
	s_wait_xcnt 0x0
	s_delay_alu instid0(VALU_DEP_1)
	v_cmpx_eq_u32_e32 0, v0
	s_cbranch_execz .LBB11_279
; %bb.278:                              ;   in Loop: Header=BB11_2 Depth=1
	s_bcnt1_i32_b32 s15, s15
	s_delay_alu instid0(SALU_CYCLE_1)
	v_mov_b32_e32 v0, s15
	global_wb scope:SCOPE_SYS
	s_wait_loadcnt 0x0
	s_wait_storecnt 0x0
	global_atomic_add_u64 v[12:13], v[0:1], off offset:8 scope:SCOPE_SYS
.LBB11_279:                             ;   in Loop: Header=BB11_2 Depth=1
	s_wait_xcnt 0x0
	s_or_b32 exec_lo, exec_lo, s14
	s_wait_loadcnt 0x0
	global_load_b64 v[16:17], v[12:13], off offset:16
	s_wait_loadcnt 0x0
	v_cmp_eq_u64_e32 vcc_lo, 0, v[16:17]
	s_cbranch_vccnz .LBB11_281
; %bb.280:                              ;   in Loop: Header=BB11_2 Depth=1
	global_load_b32 v0, v[12:13], off offset:24
	s_wait_loadcnt 0x0
	v_readfirstlane_b32 s14, v0
	global_wb scope:SCOPE_SYS
	s_wait_storecnt 0x0
	s_wait_xcnt 0x0
	global_store_b64 v[16:17], v[0:1], off scope:SCOPE_SYS
	s_and_b32 m0, s14, 0xffffff
	s_sendmsg sendmsg(MSG_INTERRUPT)
.LBB11_281:                             ;   in Loop: Header=BB11_2 Depth=1
	s_wait_xcnt 0x0
	s_or_b32 exec_lo, exec_lo, s1
	v_mov_b32_e32 v41, v1
	s_delay_alu instid0(VALU_DEP_1)
	v_add_nc_u64_e32 v[12:13], v[22:23], v[40:41]
	s_branch .LBB11_285
.LBB11_282:                             ;   in Loop: Header=BB11_285 Depth=2
	s_wait_xcnt 0x0
	s_or_b32 exec_lo, exec_lo, s1
	s_delay_alu instid0(VALU_DEP_1)
	v_readfirstlane_b32 s1, v0
	s_cmp_eq_u32 s1, 0
	s_cbranch_scc1 .LBB11_284
; %bb.283:                              ;   in Loop: Header=BB11_285 Depth=2
	s_sleep 1
	s_cbranch_execnz .LBB11_285
	s_branch .LBB11_287
.LBB11_284:                             ;   in Loop: Header=BB11_2 Depth=1
	s_branch .LBB11_287
.LBB11_285:                             ;   Parent Loop BB11_2 Depth=1
                                        ; =>  This Inner Loop Header: Depth=2
	v_mov_b32_e32 v0, 1
	s_and_saveexec_b32 s1, s0
	s_cbranch_execz .LBB11_282
; %bb.286:                              ;   in Loop: Header=BB11_285 Depth=2
	global_load_b32 v0, v[24:25], off offset:20 scope:SCOPE_SYS
	s_wait_loadcnt 0x0
	global_inv scope:SCOPE_SYS
	v_and_b32_e32 v0, 1, v0
	s_branch .LBB11_282
.LBB11_287:                             ;   in Loop: Header=BB11_2 Depth=1
	global_load_b64 v[16:17], v[12:13], off
	s_wait_xcnt 0x0
	s_and_saveexec_b32 s14, s0
	s_cbranch_execz .LBB11_291
; %bb.288:                              ;   in Loop: Header=BB11_2 Depth=1
	s_clause 0x2
	global_load_b64 v[12:13], v1, s[8:9] offset:40
	global_load_b64 v[22:23], v1, s[8:9] offset:24 scope:SCOPE_SYS
	global_load_b64 v[18:19], v1, s[8:9]
	s_wait_loadcnt 0x2
	v_readfirstlane_b32 s16, v12
	v_readfirstlane_b32 s17, v13
	s_add_nc_u64 s[0:1], s[16:17], 1
	s_delay_alu instid0(SALU_CYCLE_1) | instskip(NEXT) | instid1(SALU_CYCLE_1)
	s_add_nc_u64 s[12:13], s[0:1], s[12:13]
	s_cmp_eq_u64 s[12:13], 0
	s_cselect_b32 s1, s1, s13
	s_cselect_b32 s0, s0, s12
	s_delay_alu instid0(SALU_CYCLE_1) | instskip(SKIP_1) | instid1(SALU_CYCLE_1)
	v_dual_mov_b32 v21, s1 :: v_dual_mov_b32 v20, s0
	s_and_b64 s[12:13], s[0:1], s[16:17]
	s_mul_u64 s[12:13], s[12:13], 24
	s_wait_loadcnt 0x0
	v_add_nc_u64_e32 v[12:13], s[12:13], v[18:19]
	global_store_b64 v[12:13], v[22:23], off
	global_wb scope:SCOPE_SYS
	s_wait_storecnt 0x0
	s_wait_xcnt 0x0
	global_atomic_cmpswap_b64 v[20:21], v1, v[20:23], s[8:9] offset:24 th:TH_ATOMIC_RETURN scope:SCOPE_SYS
	s_wait_loadcnt 0x0
	v_cmp_ne_u64_e32 vcc_lo, v[20:21], v[22:23]
	s_wait_xcnt 0x0
	s_and_b32 exec_lo, exec_lo, vcc_lo
	s_cbranch_execz .LBB11_291
; %bb.289:                              ;   in Loop: Header=BB11_2 Depth=1
	s_mov_b32 s12, 0
.LBB11_290:                             ;   Parent Loop BB11_2 Depth=1
                                        ; =>  This Inner Loop Header: Depth=2
	v_dual_mov_b32 v18, s0 :: v_dual_mov_b32 v19, s1
	s_sleep 1
	global_store_b64 v[12:13], v[20:21], off
	global_wb scope:SCOPE_SYS
	s_wait_storecnt 0x0
	s_wait_xcnt 0x0
	global_atomic_cmpswap_b64 v[18:19], v1, v[18:21], s[8:9] offset:24 th:TH_ATOMIC_RETURN scope:SCOPE_SYS
	s_wait_loadcnt 0x0
	v_cmp_eq_u64_e32 vcc_lo, v[18:19], v[20:21]
	s_wait_xcnt 0x0
	v_mov_b64_e32 v[20:21], v[18:19]
	s_or_b32 s12, vcc_lo, s12
	s_delay_alu instid0(SALU_CYCLE_1)
	s_and_not1_b32 exec_lo, exec_lo, s12
	s_cbranch_execnz .LBB11_290
.LBB11_291:                             ;   in Loop: Header=BB11_2 Depth=1
	s_or_b32 exec_lo, exec_lo, s14
	v_readfirstlane_b32 s0, v38
	v_mov_b64_e32 v[12:13], 0
	s_delay_alu instid0(VALU_DEP_2)
	v_cmp_eq_u32_e64 s0, s0, v38
	s_and_saveexec_b32 s1, s0
	s_cbranch_execz .LBB11_297
; %bb.292:                              ;   in Loop: Header=BB11_2 Depth=1
	global_load_b64 v[20:21], v1, s[8:9] offset:24 scope:SCOPE_SYS
	s_wait_loadcnt 0x0
	global_inv scope:SCOPE_SYS
	s_clause 0x1
	global_load_b64 v[12:13], v1, s[8:9] offset:40
	global_load_b64 v[18:19], v1, s[8:9]
	s_mov_b32 s12, exec_lo
	s_wait_loadcnt 0x1
	v_and_b32_e32 v12, v12, v20
	v_and_b32_e32 v13, v13, v21
	s_delay_alu instid0(VALU_DEP_1) | instskip(SKIP_1) | instid1(VALU_DEP_1)
	v_mul_u64_e32 v[12:13], 24, v[12:13]
	s_wait_loadcnt 0x0
	v_add_nc_u64_e32 v[12:13], v[18:19], v[12:13]
	global_load_b64 v[18:19], v[12:13], off scope:SCOPE_SYS
	s_wait_xcnt 0x0
	s_wait_loadcnt 0x0
	global_atomic_cmpswap_b64 v[12:13], v1, v[18:21], s[8:9] offset:24 th:TH_ATOMIC_RETURN scope:SCOPE_SYS
	s_wait_loadcnt 0x0
	global_inv scope:SCOPE_SYS
	s_wait_xcnt 0x0
	v_cmpx_ne_u64_e64 v[12:13], v[20:21]
	s_cbranch_execz .LBB11_296
; %bb.293:                              ;   in Loop: Header=BB11_2 Depth=1
	s_mov_b32 s13, 0
.LBB11_294:                             ;   Parent Loop BB11_2 Depth=1
                                        ; =>  This Inner Loop Header: Depth=2
	s_sleep 1
	s_clause 0x1
	global_load_b64 v[18:19], v1, s[8:9] offset:40
	global_load_b64 v[22:23], v1, s[8:9]
	v_mov_b64_e32 v[20:21], v[12:13]
	s_wait_loadcnt 0x1
	s_delay_alu instid0(VALU_DEP_1) | instskip(SKIP_1) | instid1(VALU_DEP_1)
	v_and_b32_e32 v0, v18, v20
	s_wait_loadcnt 0x0
	v_mad_nc_u64_u32 v[12:13], v0, 24, v[22:23]
	s_delay_alu instid0(VALU_DEP_3) | instskip(NEXT) | instid1(VALU_DEP_1)
	v_and_b32_e32 v0, v19, v21
	v_mad_u32 v13, v0, 24, v13
	global_load_b64 v[18:19], v[12:13], off scope:SCOPE_SYS
	s_wait_xcnt 0x0
	s_wait_loadcnt 0x0
	global_atomic_cmpswap_b64 v[12:13], v1, v[18:21], s[8:9] offset:24 th:TH_ATOMIC_RETURN scope:SCOPE_SYS
	s_wait_loadcnt 0x0
	global_inv scope:SCOPE_SYS
	v_cmp_eq_u64_e32 vcc_lo, v[12:13], v[20:21]
	s_or_b32 s13, vcc_lo, s13
	s_wait_xcnt 0x0
	s_and_not1_b32 exec_lo, exec_lo, s13
	s_cbranch_execnz .LBB11_294
; %bb.295:                              ;   in Loop: Header=BB11_2 Depth=1
	s_or_b32 exec_lo, exec_lo, s13
.LBB11_296:                             ;   in Loop: Header=BB11_2 Depth=1
	s_delay_alu instid0(SALU_CYCLE_1)
	s_or_b32 exec_lo, exec_lo, s12
.LBB11_297:                             ;   in Loop: Header=BB11_2 Depth=1
	s_delay_alu instid0(SALU_CYCLE_1)
	s_or_b32 exec_lo, exec_lo, s1
	s_clause 0x1
	global_load_b64 v[18:19], v1, s[8:9] offset:40
	global_load_b128 v[20:23], v1, s[8:9]
	v_readfirstlane_b32 s12, v12
	v_readfirstlane_b32 s13, v13
	s_mov_b32 s1, exec_lo
	s_wait_loadcnt 0x1
	v_and_b32_e32 v18, s12, v18
	v_and_b32_e32 v19, s13, v19
	s_delay_alu instid0(VALU_DEP_1) | instskip(SKIP_1) | instid1(VALU_DEP_1)
	v_mul_u64_e32 v[12:13], 24, v[18:19]
	s_wait_loadcnt 0x0
	v_add_nc_u64_e32 v[12:13], v[20:21], v[12:13]
	s_wait_xcnt 0x0
	s_and_saveexec_b32 s14, s0
	s_cbranch_execz .LBB11_299
; %bb.298:                              ;   in Loop: Header=BB11_2 Depth=1
	v_mov_b32_e32 v0, s1
	global_store_b128 v[12:13], v[0:3], off offset:8
.LBB11_299:                             ;   in Loop: Header=BB11_2 Depth=1
	s_wait_xcnt 0x0
	s_or_b32 exec_lo, exec_lo, s14
	v_lshlrev_b64_e32 v[18:19], 12, v[18:19]
	v_mov_b64_e32 v[26:27], s[6:7]
	v_mov_b64_e32 v[24:25], s[4:5]
	v_and_or_b32 v16, 0xffffff1f, v16, 32
	s_delay_alu instid0(VALU_DEP_4) | instskip(SKIP_1) | instid1(VALU_DEP_2)
	v_add_nc_u64_e32 v[22:23], v[22:23], v[18:19]
	v_dual_mov_b32 v18, v14 :: v_dual_mov_b32 v19, v1
	v_readfirstlane_b32 s14, v22
	s_delay_alu instid0(VALU_DEP_3)
	v_readfirstlane_b32 s15, v23
	s_clause 0x3
	global_store_b128 v40, v[16:19], s[14:15]
	global_store_b128 v40, v[24:27], s[14:15] offset:16
	global_store_b128 v40, v[24:27], s[14:15] offset:32
	;; [unrolled: 1-line block ×3, first 2 shown]
	s_wait_xcnt 0x0
	s_and_saveexec_b32 s1, s0
	s_cbranch_execz .LBB11_307
; %bb.300:                              ;   in Loop: Header=BB11_2 Depth=1
	s_clause 0x1
	global_load_b64 v[26:27], v1, s[8:9] offset:32 scope:SCOPE_SYS
	global_load_b64 v[16:17], v1, s[8:9] offset:40
	s_mov_b32 s14, exec_lo
	v_dual_mov_b32 v24, s12 :: v_dual_mov_b32 v25, s13
	s_wait_loadcnt 0x0
	v_and_b32_e32 v17, s13, v17
	v_and_b32_e32 v16, s12, v16
	s_delay_alu instid0(VALU_DEP_1) | instskip(NEXT) | instid1(VALU_DEP_1)
	v_mul_u64_e32 v[16:17], 24, v[16:17]
	v_add_nc_u64_e32 v[20:21], v[20:21], v[16:17]
	global_store_b64 v[20:21], v[26:27], off
	global_wb scope:SCOPE_SYS
	s_wait_storecnt 0x0
	s_wait_xcnt 0x0
	global_atomic_cmpswap_b64 v[18:19], v1, v[24:27], s[8:9] offset:32 th:TH_ATOMIC_RETURN scope:SCOPE_SYS
	s_wait_loadcnt 0x0
	s_wait_xcnt 0x0
	v_cmpx_ne_u64_e64 v[18:19], v[26:27]
	s_cbranch_execz .LBB11_303
; %bb.301:                              ;   in Loop: Header=BB11_2 Depth=1
	s_mov_b32 s15, 0
.LBB11_302:                             ;   Parent Loop BB11_2 Depth=1
                                        ; =>  This Inner Loop Header: Depth=2
	v_dual_mov_b32 v16, s12 :: v_dual_mov_b32 v17, s13
	s_sleep 1
	global_store_b64 v[20:21], v[18:19], off
	global_wb scope:SCOPE_SYS
	s_wait_storecnt 0x0
	s_wait_xcnt 0x0
	global_atomic_cmpswap_b64 v[16:17], v1, v[16:19], s[8:9] offset:32 th:TH_ATOMIC_RETURN scope:SCOPE_SYS
	s_wait_loadcnt 0x0
	v_cmp_eq_u64_e32 vcc_lo, v[16:17], v[18:19]
	s_wait_xcnt 0x0
	v_mov_b64_e32 v[18:19], v[16:17]
	s_or_b32 s15, vcc_lo, s15
	s_delay_alu instid0(SALU_CYCLE_1)
	s_and_not1_b32 exec_lo, exec_lo, s15
	s_cbranch_execnz .LBB11_302
.LBB11_303:                             ;   in Loop: Header=BB11_2 Depth=1
	s_or_b32 exec_lo, exec_lo, s14
	global_load_b64 v[16:17], v1, s[8:9] offset:16
	s_mov_b32 s15, exec_lo
	s_mov_b32 s14, exec_lo
	v_mbcnt_lo_u32_b32 v0, s15, 0
	s_wait_xcnt 0x0
	s_delay_alu instid0(VALU_DEP_1)
	v_cmpx_eq_u32_e32 0, v0
	s_cbranch_execz .LBB11_305
; %bb.304:                              ;   in Loop: Header=BB11_2 Depth=1
	s_bcnt1_i32_b32 s15, s15
	s_delay_alu instid0(SALU_CYCLE_1)
	v_mov_b32_e32 v0, s15
	global_wb scope:SCOPE_SYS
	s_wait_loadcnt 0x0
	s_wait_storecnt 0x0
	global_atomic_add_u64 v[16:17], v[0:1], off offset:8 scope:SCOPE_SYS
.LBB11_305:                             ;   in Loop: Header=BB11_2 Depth=1
	s_wait_xcnt 0x0
	s_or_b32 exec_lo, exec_lo, s14
	s_wait_loadcnt 0x0
	global_load_b64 v[18:19], v[16:17], off offset:16
	s_wait_loadcnt 0x0
	v_cmp_eq_u64_e32 vcc_lo, 0, v[18:19]
	s_cbranch_vccnz .LBB11_307
; %bb.306:                              ;   in Loop: Header=BB11_2 Depth=1
	global_load_b32 v0, v[16:17], off offset:24
	s_wait_loadcnt 0x0
	v_readfirstlane_b32 s14, v0
	global_wb scope:SCOPE_SYS
	s_wait_storecnt 0x0
	s_wait_xcnt 0x0
	global_store_b64 v[18:19], v[0:1], off scope:SCOPE_SYS
	s_and_b32 m0, s14, 0xffffff
	s_sendmsg sendmsg(MSG_INTERRUPT)
.LBB11_307:                             ;   in Loop: Header=BB11_2 Depth=1
	s_wait_xcnt 0x0
	s_or_b32 exec_lo, exec_lo, s1
	v_mov_b32_e32 v41, v1
	s_delay_alu instid0(VALU_DEP_1)
	v_add_nc_u64_e32 v[16:17], v[22:23], v[40:41]
	s_branch .LBB11_311
.LBB11_308:                             ;   in Loop: Header=BB11_311 Depth=2
	s_wait_xcnt 0x0
	s_or_b32 exec_lo, exec_lo, s1
	s_delay_alu instid0(VALU_DEP_1)
	v_readfirstlane_b32 s1, v0
	s_cmp_eq_u32 s1, 0
	s_cbranch_scc1 .LBB11_310
; %bb.309:                              ;   in Loop: Header=BB11_311 Depth=2
	s_sleep 1
	s_cbranch_execnz .LBB11_311
	s_branch .LBB11_313
.LBB11_310:                             ;   in Loop: Header=BB11_2 Depth=1
	s_branch .LBB11_313
.LBB11_311:                             ;   Parent Loop BB11_2 Depth=1
                                        ; =>  This Inner Loop Header: Depth=2
	v_mov_b32_e32 v0, 1
	s_and_saveexec_b32 s1, s0
	s_cbranch_execz .LBB11_308
; %bb.312:                              ;   in Loop: Header=BB11_311 Depth=2
	global_load_b32 v0, v[12:13], off offset:20 scope:SCOPE_SYS
	s_wait_loadcnt 0x0
	global_inv scope:SCOPE_SYS
	v_and_b32_e32 v0, 1, v0
	s_branch .LBB11_308
.LBB11_313:                             ;   in Loop: Header=BB11_2 Depth=1
	global_load_b64 v[12:13], v[16:17], off
	s_wait_xcnt 0x0
	s_and_saveexec_b32 s14, s0
	s_cbranch_execz .LBB11_317
; %bb.314:                              ;   in Loop: Header=BB11_2 Depth=1
	s_clause 0x2
	global_load_b64 v[16:17], v1, s[8:9] offset:40
	global_load_b64 v[24:25], v1, s[8:9] offset:24 scope:SCOPE_SYS
	global_load_b64 v[18:19], v1, s[8:9]
	s_wait_loadcnt 0x2
	v_readfirstlane_b32 s16, v16
	v_readfirstlane_b32 s17, v17
	s_add_nc_u64 s[0:1], s[16:17], 1
	s_delay_alu instid0(SALU_CYCLE_1) | instskip(NEXT) | instid1(SALU_CYCLE_1)
	s_add_nc_u64 s[12:13], s[0:1], s[12:13]
	s_cmp_eq_u64 s[12:13], 0
	s_cselect_b32 s1, s1, s13
	s_cselect_b32 s0, s0, s12
	s_delay_alu instid0(SALU_CYCLE_1) | instskip(SKIP_1) | instid1(SALU_CYCLE_1)
	v_dual_mov_b32 v23, s1 :: v_dual_mov_b32 v22, s0
	s_and_b64 s[12:13], s[0:1], s[16:17]
	s_mul_u64 s[12:13], s[12:13], 24
	s_wait_loadcnt 0x0
	v_add_nc_u64_e32 v[20:21], s[12:13], v[18:19]
	global_store_b64 v[20:21], v[24:25], off
	global_wb scope:SCOPE_SYS
	s_wait_storecnt 0x0
	s_wait_xcnt 0x0
	global_atomic_cmpswap_b64 v[18:19], v1, v[22:25], s[8:9] offset:24 th:TH_ATOMIC_RETURN scope:SCOPE_SYS
	s_wait_loadcnt 0x0
	v_cmp_ne_u64_e32 vcc_lo, v[18:19], v[24:25]
	s_wait_xcnt 0x0
	s_and_b32 exec_lo, exec_lo, vcc_lo
	s_cbranch_execz .LBB11_317
; %bb.315:                              ;   in Loop: Header=BB11_2 Depth=1
	s_mov_b32 s12, 0
.LBB11_316:                             ;   Parent Loop BB11_2 Depth=1
                                        ; =>  This Inner Loop Header: Depth=2
	v_dual_mov_b32 v16, s0 :: v_dual_mov_b32 v17, s1
	s_sleep 1
	global_store_b64 v[20:21], v[18:19], off
	global_wb scope:SCOPE_SYS
	s_wait_storecnt 0x0
	s_wait_xcnt 0x0
	global_atomic_cmpswap_b64 v[16:17], v1, v[16:19], s[8:9] offset:24 th:TH_ATOMIC_RETURN scope:SCOPE_SYS
	s_wait_loadcnt 0x0
	v_cmp_eq_u64_e32 vcc_lo, v[16:17], v[18:19]
	s_wait_xcnt 0x0
	v_mov_b64_e32 v[18:19], v[16:17]
	s_or_b32 s12, vcc_lo, s12
	s_delay_alu instid0(SALU_CYCLE_1)
	s_and_not1_b32 exec_lo, exec_lo, s12
	s_cbranch_execnz .LBB11_316
.LBB11_317:                             ;   in Loop: Header=BB11_2 Depth=1
	s_or_b32 exec_lo, exec_lo, s14
	v_readfirstlane_b32 s0, v38
	v_mov_b64_e32 v[20:21], 0
	s_delay_alu instid0(VALU_DEP_2)
	v_cmp_eq_u32_e64 s0, s0, v38
	s_and_saveexec_b32 s1, s0
	s_cbranch_execz .LBB11_323
; %bb.318:                              ;   in Loop: Header=BB11_2 Depth=1
	global_load_b64 v[18:19], v1, s[8:9] offset:24 scope:SCOPE_SYS
	s_wait_loadcnt 0x0
	global_inv scope:SCOPE_SYS
	s_clause 0x1
	global_load_b64 v[16:17], v1, s[8:9] offset:40
	global_load_b64 v[20:21], v1, s[8:9]
	s_mov_b32 s12, exec_lo
	s_wait_loadcnt 0x1
	v_and_b32_e32 v16, v16, v18
	v_and_b32_e32 v17, v17, v19
	s_delay_alu instid0(VALU_DEP_1) | instskip(SKIP_1) | instid1(VALU_DEP_1)
	v_mul_u64_e32 v[16:17], 24, v[16:17]
	s_wait_loadcnt 0x0
	v_add_nc_u64_e32 v[16:17], v[20:21], v[16:17]
	global_load_b64 v[16:17], v[16:17], off scope:SCOPE_SYS
	s_wait_xcnt 0x0
	s_wait_loadcnt 0x0
	global_atomic_cmpswap_b64 v[20:21], v1, v[16:19], s[8:9] offset:24 th:TH_ATOMIC_RETURN scope:SCOPE_SYS
	s_wait_loadcnt 0x0
	global_inv scope:SCOPE_SYS
	s_wait_xcnt 0x0
	v_cmpx_ne_u64_e64 v[20:21], v[18:19]
	s_cbranch_execz .LBB11_322
; %bb.319:                              ;   in Loop: Header=BB11_2 Depth=1
	s_mov_b32 s13, 0
.LBB11_320:                             ;   Parent Loop BB11_2 Depth=1
                                        ; =>  This Inner Loop Header: Depth=2
	s_sleep 1
	s_clause 0x1
	global_load_b64 v[16:17], v1, s[8:9] offset:40
	global_load_b64 v[22:23], v1, s[8:9]
	v_mov_b64_e32 v[18:19], v[20:21]
	s_wait_loadcnt 0x1
	s_delay_alu instid0(VALU_DEP_1) | instskip(SKIP_1) | instid1(VALU_DEP_1)
	v_and_b32_e32 v0, v16, v18
	s_wait_loadcnt 0x0
	v_mad_nc_u64_u32 v[20:21], v0, 24, v[22:23]
	s_delay_alu instid0(VALU_DEP_3) | instskip(NEXT) | instid1(VALU_DEP_1)
	v_and_b32_e32 v0, v17, v19
	v_mad_u32 v21, v0, 24, v21
	global_load_b64 v[16:17], v[20:21], off scope:SCOPE_SYS
	s_wait_xcnt 0x0
	s_wait_loadcnt 0x0
	global_atomic_cmpswap_b64 v[20:21], v1, v[16:19], s[8:9] offset:24 th:TH_ATOMIC_RETURN scope:SCOPE_SYS
	s_wait_loadcnt 0x0
	global_inv scope:SCOPE_SYS
	v_cmp_eq_u64_e32 vcc_lo, v[20:21], v[18:19]
	s_or_b32 s13, vcc_lo, s13
	s_wait_xcnt 0x0
	s_and_not1_b32 exec_lo, exec_lo, s13
	s_cbranch_execnz .LBB11_320
; %bb.321:                              ;   in Loop: Header=BB11_2 Depth=1
	s_or_b32 exec_lo, exec_lo, s13
.LBB11_322:                             ;   in Loop: Header=BB11_2 Depth=1
	s_delay_alu instid0(SALU_CYCLE_1)
	s_or_b32 exec_lo, exec_lo, s12
.LBB11_323:                             ;   in Loop: Header=BB11_2 Depth=1
	s_delay_alu instid0(SALU_CYCLE_1)
	s_or_b32 exec_lo, exec_lo, s1
	s_clause 0x1
	global_load_b64 v[22:23], v1, s[8:9] offset:40
	global_load_b128 v[16:19], v1, s[8:9]
	v_readfirstlane_b32 s12, v20
	v_readfirstlane_b32 s13, v21
	s_mov_b32 s1, exec_lo
	s_wait_loadcnt 0x1
	v_and_b32_e32 v22, s12, v22
	v_and_b32_e32 v23, s13, v23
	s_delay_alu instid0(VALU_DEP_1) | instskip(SKIP_1) | instid1(VALU_DEP_1)
	v_mul_u64_e32 v[20:21], 24, v[22:23]
	s_wait_loadcnt 0x0
	v_add_nc_u64_e32 v[20:21], v[16:17], v[20:21]
	s_wait_xcnt 0x0
	s_and_saveexec_b32 s14, s0
	s_cbranch_execz .LBB11_325
; %bb.324:                              ;   in Loop: Header=BB11_2 Depth=1
	v_mov_b32_e32 v0, s1
	global_store_b128 v[20:21], v[0:3], off offset:8
.LBB11_325:                             ;   in Loop: Header=BB11_2 Depth=1
	s_wait_xcnt 0x0
	s_or_b32 exec_lo, exec_lo, s14
	v_lshlrev_b64_e32 v[22:23], 12, v[22:23]
	v_and_or_b32 v12, 0xffffff1d, v12, 34
	v_dual_mov_b32 v14, v15 :: v_dual_mov_b32 v15, v1
	s_delay_alu instid0(VALU_DEP_3) | instskip(SKIP_2) | instid1(VALU_DEP_3)
	v_add_nc_u64_e32 v[18:19], v[18:19], v[22:23]
	v_mov_b64_e32 v[24:25], s[6:7]
	v_mov_b64_e32 v[22:23], s[4:5]
	v_readfirstlane_b32 s14, v18
	s_delay_alu instid0(VALU_DEP_4)
	v_readfirstlane_b32 s15, v19
	s_clause 0x3
	global_store_b128 v40, v[12:15], s[14:15]
	global_store_b128 v40, v[22:25], s[14:15] offset:16
	global_store_b128 v40, v[22:25], s[14:15] offset:32
	;; [unrolled: 1-line block ×3, first 2 shown]
	s_wait_xcnt 0x0
	s_and_saveexec_b32 s1, s0
	s_cbranch_execz .LBB11_333
; %bb.326:                              ;   in Loop: Header=BB11_2 Depth=1
	s_clause 0x1
	global_load_b64 v[24:25], v1, s[8:9] offset:32 scope:SCOPE_SYS
	global_load_b64 v[12:13], v1, s[8:9] offset:40
	s_mov_b32 s14, exec_lo
	v_dual_mov_b32 v22, s12 :: v_dual_mov_b32 v23, s13
	s_wait_loadcnt 0x0
	v_and_b32_e32 v13, s13, v13
	v_and_b32_e32 v12, s12, v12
	s_delay_alu instid0(VALU_DEP_1) | instskip(NEXT) | instid1(VALU_DEP_1)
	v_mul_u64_e32 v[12:13], 24, v[12:13]
	v_add_nc_u64_e32 v[16:17], v[16:17], v[12:13]
	global_store_b64 v[16:17], v[24:25], off
	global_wb scope:SCOPE_SYS
	s_wait_storecnt 0x0
	s_wait_xcnt 0x0
	global_atomic_cmpswap_b64 v[14:15], v1, v[22:25], s[8:9] offset:32 th:TH_ATOMIC_RETURN scope:SCOPE_SYS
	s_wait_loadcnt 0x0
	v_cmpx_ne_u64_e64 v[14:15], v[24:25]
	s_cbranch_execz .LBB11_329
; %bb.327:                              ;   in Loop: Header=BB11_2 Depth=1
	s_mov_b32 s15, 0
.LBB11_328:                             ;   Parent Loop BB11_2 Depth=1
                                        ; =>  This Inner Loop Header: Depth=2
	v_dual_mov_b32 v12, s12 :: v_dual_mov_b32 v13, s13
	s_sleep 1
	global_store_b64 v[16:17], v[14:15], off
	global_wb scope:SCOPE_SYS
	s_wait_storecnt 0x0
	s_wait_xcnt 0x0
	global_atomic_cmpswap_b64 v[12:13], v1, v[12:15], s[8:9] offset:32 th:TH_ATOMIC_RETURN scope:SCOPE_SYS
	s_wait_loadcnt 0x0
	v_cmp_eq_u64_e32 vcc_lo, v[12:13], v[14:15]
	v_mov_b64_e32 v[14:15], v[12:13]
	s_or_b32 s15, vcc_lo, s15
	s_delay_alu instid0(SALU_CYCLE_1)
	s_and_not1_b32 exec_lo, exec_lo, s15
	s_cbranch_execnz .LBB11_328
.LBB11_329:                             ;   in Loop: Header=BB11_2 Depth=1
	s_or_b32 exec_lo, exec_lo, s14
	global_load_b64 v[12:13], v1, s[8:9] offset:16
	s_mov_b32 s15, exec_lo
	s_mov_b32 s14, exec_lo
	v_mbcnt_lo_u32_b32 v0, s15, 0
	s_wait_xcnt 0x0
	s_delay_alu instid0(VALU_DEP_1)
	v_cmpx_eq_u32_e32 0, v0
	s_cbranch_execz .LBB11_331
; %bb.330:                              ;   in Loop: Header=BB11_2 Depth=1
	s_bcnt1_i32_b32 s15, s15
	s_delay_alu instid0(SALU_CYCLE_1)
	v_mov_b32_e32 v0, s15
	global_wb scope:SCOPE_SYS
	s_wait_loadcnt 0x0
	s_wait_storecnt 0x0
	global_atomic_add_u64 v[12:13], v[0:1], off offset:8 scope:SCOPE_SYS
.LBB11_331:                             ;   in Loop: Header=BB11_2 Depth=1
	s_wait_xcnt 0x0
	s_or_b32 exec_lo, exec_lo, s14
	s_wait_loadcnt 0x0
	global_load_b64 v[14:15], v[12:13], off offset:16
	s_wait_loadcnt 0x0
	v_cmp_eq_u64_e32 vcc_lo, 0, v[14:15]
	s_cbranch_vccnz .LBB11_333
; %bb.332:                              ;   in Loop: Header=BB11_2 Depth=1
	global_load_b32 v0, v[12:13], off offset:24
	s_wait_loadcnt 0x0
	v_readfirstlane_b32 s14, v0
	global_wb scope:SCOPE_SYS
	s_wait_storecnt 0x0
	s_wait_xcnt 0x0
	global_store_b64 v[14:15], v[0:1], off scope:SCOPE_SYS
	s_and_b32 m0, s14, 0xffffff
	s_sendmsg sendmsg(MSG_INTERRUPT)
.LBB11_333:                             ;   in Loop: Header=BB11_2 Depth=1
	s_wait_xcnt 0x0
	s_or_b32 exec_lo, exec_lo, s1
	s_branch .LBB11_337
.LBB11_334:                             ;   in Loop: Header=BB11_337 Depth=2
	s_wait_xcnt 0x0
	s_or_b32 exec_lo, exec_lo, s1
	s_delay_alu instid0(VALU_DEP_1)
	v_readfirstlane_b32 s1, v0
	s_cmp_eq_u32 s1, 0
	s_cbranch_scc1 .LBB11_336
; %bb.335:                              ;   in Loop: Header=BB11_337 Depth=2
	s_sleep 1
	s_cbranch_execnz .LBB11_337
	s_branch .LBB11_339
.LBB11_336:                             ;   in Loop: Header=BB11_2 Depth=1
	s_branch .LBB11_339
.LBB11_337:                             ;   Parent Loop BB11_2 Depth=1
                                        ; =>  This Inner Loop Header: Depth=2
	v_mov_b32_e32 v0, 1
	s_and_saveexec_b32 s1, s0
	s_cbranch_execz .LBB11_334
; %bb.338:                              ;   in Loop: Header=BB11_337 Depth=2
	global_load_b32 v0, v[20:21], off offset:20 scope:SCOPE_SYS
	s_wait_loadcnt 0x0
	global_inv scope:SCOPE_SYS
	v_and_b32_e32 v0, 1, v0
	s_branch .LBB11_334
.LBB11_339:                             ;   in Loop: Header=BB11_2 Depth=1
	s_and_saveexec_b32 s14, s0
	s_cbranch_execz .LBB11_1
; %bb.340:                              ;   in Loop: Header=BB11_2 Depth=1
	s_clause 0x2
	global_load_b64 v[12:13], v1, s[8:9] offset:40
	global_load_b64 v[20:21], v1, s[8:9] offset:24 scope:SCOPE_SYS
	global_load_b64 v[14:15], v1, s[8:9]
	s_wait_loadcnt 0x2
	v_readfirstlane_b32 s16, v12
	v_readfirstlane_b32 s17, v13
	s_add_nc_u64 s[0:1], s[16:17], 1
	s_delay_alu instid0(SALU_CYCLE_1) | instskip(NEXT) | instid1(SALU_CYCLE_1)
	s_add_nc_u64 s[12:13], s[0:1], s[12:13]
	s_cmp_eq_u64 s[12:13], 0
	s_cselect_b32 s1, s1, s13
	s_cselect_b32 s0, s0, s12
	s_delay_alu instid0(SALU_CYCLE_1) | instskip(SKIP_1) | instid1(SALU_CYCLE_1)
	v_dual_mov_b32 v19, s1 :: v_dual_mov_b32 v18, s0
	s_and_b64 s[12:13], s[0:1], s[16:17]
	s_mul_u64 s[12:13], s[12:13], 24
	s_wait_loadcnt 0x0
	v_add_nc_u64_e32 v[16:17], s[12:13], v[14:15]
	global_store_b64 v[16:17], v[20:21], off
	global_wb scope:SCOPE_SYS
	s_wait_storecnt 0x0
	s_wait_xcnt 0x0
	global_atomic_cmpswap_b64 v[14:15], v1, v[18:21], s[8:9] offset:24 th:TH_ATOMIC_RETURN scope:SCOPE_SYS
	s_wait_loadcnt 0x0
	v_cmp_ne_u64_e32 vcc_lo, v[14:15], v[20:21]
	s_and_b32 exec_lo, exec_lo, vcc_lo
	s_cbranch_execz .LBB11_1
; %bb.341:                              ;   in Loop: Header=BB11_2 Depth=1
	s_mov_b32 s12, 0
.LBB11_342:                             ;   Parent Loop BB11_2 Depth=1
                                        ; =>  This Inner Loop Header: Depth=2
	v_dual_mov_b32 v12, s0 :: v_dual_mov_b32 v13, s1
	s_sleep 1
	global_store_b64 v[16:17], v[14:15], off
	global_wb scope:SCOPE_SYS
	s_wait_storecnt 0x0
	s_wait_xcnt 0x0
	global_atomic_cmpswap_b64 v[12:13], v1, v[12:15], s[8:9] offset:24 th:TH_ATOMIC_RETURN scope:SCOPE_SYS
	s_wait_loadcnt 0x0
	v_cmp_eq_u64_e32 vcc_lo, v[12:13], v[14:15]
	v_mov_b64_e32 v[14:15], v[12:13]
	s_or_b32 s12, vcc_lo, s12
	s_delay_alu instid0(SALU_CYCLE_1)
	s_and_not1_b32 exec_lo, exec_lo, s12
	s_cbranch_execnz .LBB11_342
	s_branch .LBB11_1
.LBB11_343:
	s_endpgm
	.section	.rodata,"a",@progbits
	.p2align	6, 0x0
	.amdhsa_kernel _Z9printCutsiPN2rw3CutE
		.amdhsa_group_segment_fixed_size 0
		.amdhsa_private_segment_fixed_size 0
		.amdhsa_kernarg_size 272
		.amdhsa_user_sgpr_count 2
		.amdhsa_user_sgpr_dispatch_ptr 0
		.amdhsa_user_sgpr_queue_ptr 0
		.amdhsa_user_sgpr_kernarg_segment_ptr 1
		.amdhsa_user_sgpr_dispatch_id 0
		.amdhsa_user_sgpr_kernarg_preload_length 0
		.amdhsa_user_sgpr_kernarg_preload_offset 0
		.amdhsa_user_sgpr_private_segment_size 0
		.amdhsa_wavefront_size32 1
		.amdhsa_uses_dynamic_stack 0
		.amdhsa_enable_private_segment 0
		.amdhsa_system_sgpr_workgroup_id_x 1
		.amdhsa_system_sgpr_workgroup_id_y 0
		.amdhsa_system_sgpr_workgroup_id_z 0
		.amdhsa_system_sgpr_workgroup_info 0
		.amdhsa_system_vgpr_workitem_id 0
		.amdhsa_next_free_vgpr 48
		.amdhsa_next_free_sgpr 30
		.amdhsa_named_barrier_count 0
		.amdhsa_reserve_vcc 1
		.amdhsa_float_round_mode_32 0
		.amdhsa_float_round_mode_16_64 0
		.amdhsa_float_denorm_mode_32 3
		.amdhsa_float_denorm_mode_16_64 3
		.amdhsa_fp16_overflow 0
		.amdhsa_memory_ordered 1
		.amdhsa_forward_progress 1
		.amdhsa_inst_pref_size 129
		.amdhsa_round_robin_scheduling 0
		.amdhsa_exception_fp_ieee_invalid_op 0
		.amdhsa_exception_fp_denorm_src 0
		.amdhsa_exception_fp_ieee_div_zero 0
		.amdhsa_exception_fp_ieee_overflow 0
		.amdhsa_exception_fp_ieee_underflow 0
		.amdhsa_exception_fp_ieee_inexact 0
		.amdhsa_exception_int_div_zero 0
	.end_amdhsa_kernel
	.text
.Lfunc_end11:
	.size	_Z9printCutsiPN2rw3CutE, .Lfunc_end11-_Z9printCutsiPN2rw3CutE
                                        ; -- End function
	.set _Z9printCutsiPN2rw3CutE.num_vgpr, 48
	.set _Z9printCutsiPN2rw3CutE.num_agpr, 0
	.set _Z9printCutsiPN2rw3CutE.numbered_sgpr, 30
	.set _Z9printCutsiPN2rw3CutE.num_named_barrier, 0
	.set _Z9printCutsiPN2rw3CutE.private_seg_size, 0
	.set _Z9printCutsiPN2rw3CutE.uses_vcc, 1
	.set _Z9printCutsiPN2rw3CutE.uses_flat_scratch, 0
	.set _Z9printCutsiPN2rw3CutE.has_dyn_sized_stack, 0
	.set _Z9printCutsiPN2rw3CutE.has_recursion, 0
	.set _Z9printCutsiPN2rw3CutE.has_indirect_call, 0
	.section	.AMDGPU.csdata,"",@progbits
; Kernel info:
; codeLenInByte = 16500
; TotalNumSgprs: 32
; NumVgprs: 48
; ScratchSize: 0
; MemoryBound: 0
; FloatMode: 240
; IeeeMode: 1
; LDSByteSize: 0 bytes/workgroup (compile time only)
; SGPRBlocks: 0
; VGPRBlocks: 2
; NumSGPRsForWavesPerEU: 32
; NumVGPRsForWavesPerEU: 48
; NamedBarCnt: 0
; Occupancy: 16
; WaveLimiterHint : 1
; COMPUTE_PGM_RSRC2:SCRATCH_EN: 0
; COMPUTE_PGM_RSRC2:USER_SGPR: 2
; COMPUTE_PGM_RSRC2:TRAP_HANDLER: 0
; COMPUTE_PGM_RSRC2:TGID_X_EN: 1
; COMPUTE_PGM_RSRC2:TGID_Y_EN: 0
; COMPUTE_PGM_RSRC2:TGID_Z_EN: 0
; COMPUTE_PGM_RSRC2:TIDIG_COMP_CNT: 0
	.text
	.protected	_Z7ConvertPiS_i         ; -- Begin function _Z7ConvertPiS_i
	.globl	_Z7ConvertPiS_i
	.p2align	8
	.type	_Z7ConvertPiS_i,@function
_Z7ConvertPiS_i:                        ; @_Z7ConvertPiS_i
; %bb.0:
	s_clause 0x1
	s_load_b32 s2, s[0:1], 0x24
	s_load_b32 s3, s[0:1], 0x10
	s_bfe_u32 s4, ttmp6, 0x4000c
	s_and_b32 s5, ttmp6, 15
	s_add_co_i32 s4, s4, 1
	s_getreg_b32 s6, hwreg(HW_REG_IB_STS2, 6, 4)
	s_mul_i32 s4, ttmp9, s4
	s_delay_alu instid0(SALU_CYCLE_1) | instskip(SKIP_4) | instid1(SALU_CYCLE_1)
	s_add_co_i32 s5, s5, s4
	s_wait_kmcnt 0x0
	s_and_b32 s2, s2, 0xffff
	s_cmp_eq_u32 s6, 0
	s_cselect_b32 s4, ttmp9, s5
	v_mad_u32 v0, s4, s2, v0
	s_mov_b32 s2, exec_lo
	s_delay_alu instid0(VALU_DEP_1)
	v_cmpx_gt_i32_e64 s3, v0
	s_cbranch_execz .LBB12_2
; %bb.1:
	s_load_b128 s[0:3], s[0:1], 0x0
	s_wait_kmcnt 0x0
	global_load_b32 v1, v0, s[0:1] scale_offset
	s_wait_loadcnt 0x0
	v_and_b32_e32 v1, 1, v1
	s_clause 0x1
	global_store_b32 v0, v1, s[2:3] scale_offset
	global_load_b32 v1, v0, s[0:1] scale_offset
	s_wait_loadcnt 0x0
	v_ashrrev_i32_e32 v1, 1, v1
	global_store_b32 v0, v1, s[0:1] scale_offset
.LBB12_2:
	s_endpgm
	.section	.rodata,"a",@progbits
	.p2align	6, 0x0
	.amdhsa_kernel _Z7ConvertPiS_i
		.amdhsa_group_segment_fixed_size 0
		.amdhsa_private_segment_fixed_size 0
		.amdhsa_kernarg_size 280
		.amdhsa_user_sgpr_count 2
		.amdhsa_user_sgpr_dispatch_ptr 0
		.amdhsa_user_sgpr_queue_ptr 0
		.amdhsa_user_sgpr_kernarg_segment_ptr 1
		.amdhsa_user_sgpr_dispatch_id 0
		.amdhsa_user_sgpr_kernarg_preload_length 0
		.amdhsa_user_sgpr_kernarg_preload_offset 0
		.amdhsa_user_sgpr_private_segment_size 0
		.amdhsa_wavefront_size32 1
		.amdhsa_uses_dynamic_stack 0
		.amdhsa_enable_private_segment 0
		.amdhsa_system_sgpr_workgroup_id_x 1
		.amdhsa_system_sgpr_workgroup_id_y 0
		.amdhsa_system_sgpr_workgroup_id_z 0
		.amdhsa_system_sgpr_workgroup_info 0
		.amdhsa_system_vgpr_workitem_id 0
		.amdhsa_next_free_vgpr 2
		.amdhsa_next_free_sgpr 7
		.amdhsa_named_barrier_count 0
		.amdhsa_reserve_vcc 0
		.amdhsa_float_round_mode_32 0
		.amdhsa_float_round_mode_16_64 0
		.amdhsa_float_denorm_mode_32 3
		.amdhsa_float_denorm_mode_16_64 3
		.amdhsa_fp16_overflow 0
		.amdhsa_memory_ordered 1
		.amdhsa_forward_progress 1
		.amdhsa_inst_pref_size 2
		.amdhsa_round_robin_scheduling 0
		.amdhsa_exception_fp_ieee_invalid_op 0
		.amdhsa_exception_fp_denorm_src 0
		.amdhsa_exception_fp_ieee_div_zero 0
		.amdhsa_exception_fp_ieee_overflow 0
		.amdhsa_exception_fp_ieee_underflow 0
		.amdhsa_exception_fp_ieee_inexact 0
		.amdhsa_exception_int_div_zero 0
	.end_amdhsa_kernel
	.text
.Lfunc_end12:
	.size	_Z7ConvertPiS_i, .Lfunc_end12-_Z7ConvertPiS_i
                                        ; -- End function
	.set _Z7ConvertPiS_i.num_vgpr, 2
	.set _Z7ConvertPiS_i.num_agpr, 0
	.set _Z7ConvertPiS_i.numbered_sgpr, 7
	.set _Z7ConvertPiS_i.num_named_barrier, 0
	.set _Z7ConvertPiS_i.private_seg_size, 0
	.set _Z7ConvertPiS_i.uses_vcc, 0
	.set _Z7ConvertPiS_i.uses_flat_scratch, 0
	.set _Z7ConvertPiS_i.has_dyn_sized_stack, 0
	.set _Z7ConvertPiS_i.has_recursion, 0
	.set _Z7ConvertPiS_i.has_indirect_call, 0
	.section	.AMDGPU.csdata,"",@progbits
; Kernel info:
; codeLenInByte = 184
; TotalNumSgprs: 7
; NumVgprs: 2
; ScratchSize: 0
; MemoryBound: 0
; FloatMode: 240
; IeeeMode: 1
; LDSByteSize: 0 bytes/workgroup (compile time only)
; SGPRBlocks: 0
; VGPRBlocks: 0
; NumSGPRsForWavesPerEU: 7
; NumVGPRsForWavesPerEU: 2
; NamedBarCnt: 0
; Occupancy: 16
; WaveLimiterHint : 0
; COMPUTE_PGM_RSRC2:SCRATCH_EN: 0
; COMPUTE_PGM_RSRC2:USER_SGPR: 2
; COMPUTE_PGM_RSRC2:TRAP_HANDLER: 0
; COMPUTE_PGM_RSRC2:TGID_X_EN: 1
; COMPUTE_PGM_RSRC2:TGID_Y_EN: 0
; COMPUTE_PGM_RSRC2:TGID_Z_EN: 0
; COMPUTE_PGM_RSRC2:TIDIG_COMP_CNT: 0
	.text
	.protected	_Z6RevertPiS_i          ; -- Begin function _Z6RevertPiS_i
	.globl	_Z6RevertPiS_i
	.p2align	8
	.type	_Z6RevertPiS_i,@function
_Z6RevertPiS_i:                         ; @_Z6RevertPiS_i
; %bb.0:
	s_clause 0x1
	s_load_b32 s2, s[0:1], 0x24
	s_load_b32 s3, s[0:1], 0x10
	s_bfe_u32 s4, ttmp6, 0x4000c
	s_and_b32 s5, ttmp6, 15
	s_add_co_i32 s4, s4, 1
	s_getreg_b32 s6, hwreg(HW_REG_IB_STS2, 6, 4)
	s_mul_i32 s4, ttmp9, s4
	s_delay_alu instid0(SALU_CYCLE_1) | instskip(SKIP_4) | instid1(SALU_CYCLE_1)
	s_add_co_i32 s5, s5, s4
	s_wait_kmcnt 0x0
	s_and_b32 s2, s2, 0xffff
	s_cmp_eq_u32 s6, 0
	s_cselect_b32 s4, ttmp9, s5
	v_mad_u32 v0, s4, s2, v0
	s_mov_b32 s2, exec_lo
	s_delay_alu instid0(VALU_DEP_1)
	v_cmpx_ge_i32_e64 s3, v0
	s_cbranch_execz .LBB13_2
; %bb.1:
	s_load_b128 s[0:3], s[0:1], 0x0
	s_wait_kmcnt 0x0
	global_load_b32 v1, v0, s[0:1] scale_offset
	s_wait_loadcnt 0x0
	v_lshlrev_b32_e32 v1, 1, v1
	s_clause 0x1
	global_store_b32 v0, v1, s[0:1] scale_offset
	global_load_b32 v2, v0, s[2:3] scale_offset
	s_wait_loadcnt 0x0
	s_wait_xcnt 0x1
	v_add_nc_u32_e32 v1, v2, v1
	global_store_b32 v0, v1, s[0:1] scale_offset
.LBB13_2:
	s_endpgm
	.section	.rodata,"a",@progbits
	.p2align	6, 0x0
	.amdhsa_kernel _Z6RevertPiS_i
		.amdhsa_group_segment_fixed_size 0
		.amdhsa_private_segment_fixed_size 0
		.amdhsa_kernarg_size 280
		.amdhsa_user_sgpr_count 2
		.amdhsa_user_sgpr_dispatch_ptr 0
		.amdhsa_user_sgpr_queue_ptr 0
		.amdhsa_user_sgpr_kernarg_segment_ptr 1
		.amdhsa_user_sgpr_dispatch_id 0
		.amdhsa_user_sgpr_kernarg_preload_length 0
		.amdhsa_user_sgpr_kernarg_preload_offset 0
		.amdhsa_user_sgpr_private_segment_size 0
		.amdhsa_wavefront_size32 1
		.amdhsa_uses_dynamic_stack 0
		.amdhsa_enable_private_segment 0
		.amdhsa_system_sgpr_workgroup_id_x 1
		.amdhsa_system_sgpr_workgroup_id_y 0
		.amdhsa_system_sgpr_workgroup_id_z 0
		.amdhsa_system_sgpr_workgroup_info 0
		.amdhsa_system_vgpr_workitem_id 0
		.amdhsa_next_free_vgpr 3
		.amdhsa_next_free_sgpr 7
		.amdhsa_named_barrier_count 0
		.amdhsa_reserve_vcc 0
		.amdhsa_float_round_mode_32 0
		.amdhsa_float_round_mode_16_64 0
		.amdhsa_float_denorm_mode_32 3
		.amdhsa_float_denorm_mode_16_64 3
		.amdhsa_fp16_overflow 0
		.amdhsa_memory_ordered 1
		.amdhsa_forward_progress 1
		.amdhsa_inst_pref_size 2
		.amdhsa_round_robin_scheduling 0
		.amdhsa_exception_fp_ieee_invalid_op 0
		.amdhsa_exception_fp_denorm_src 0
		.amdhsa_exception_fp_ieee_div_zero 0
		.amdhsa_exception_fp_ieee_overflow 0
		.amdhsa_exception_fp_ieee_underflow 0
		.amdhsa_exception_fp_ieee_inexact 0
		.amdhsa_exception_int_div_zero 0
	.end_amdhsa_kernel
	.text
.Lfunc_end13:
	.size	_Z6RevertPiS_i, .Lfunc_end13-_Z6RevertPiS_i
                                        ; -- End function
	.set _Z6RevertPiS_i.num_vgpr, 3
	.set _Z6RevertPiS_i.num_agpr, 0
	.set _Z6RevertPiS_i.numbered_sgpr, 7
	.set _Z6RevertPiS_i.num_named_barrier, 0
	.set _Z6RevertPiS_i.private_seg_size, 0
	.set _Z6RevertPiS_i.uses_vcc, 0
	.set _Z6RevertPiS_i.uses_flat_scratch, 0
	.set _Z6RevertPiS_i.has_dyn_sized_stack, 0
	.set _Z6RevertPiS_i.has_recursion, 0
	.set _Z6RevertPiS_i.has_indirect_call, 0
	.section	.AMDGPU.csdata,"",@progbits
; Kernel info:
; codeLenInByte = 188
; TotalNumSgprs: 7
; NumVgprs: 3
; ScratchSize: 0
; MemoryBound: 0
; FloatMode: 240
; IeeeMode: 1
; LDSByteSize: 0 bytes/workgroup (compile time only)
; SGPRBlocks: 0
; VGPRBlocks: 0
; NumSGPRsForWavesPerEU: 7
; NumVGPRsForWavesPerEU: 3
; NamedBarCnt: 0
; Occupancy: 16
; WaveLimiterHint : 0
; COMPUTE_PGM_RSRC2:SCRATCH_EN: 0
; COMPUTE_PGM_RSRC2:USER_SGPR: 2
; COMPUTE_PGM_RSRC2:TRAP_HANDLER: 0
; COMPUTE_PGM_RSRC2:TGID_X_EN: 1
; COMPUTE_PGM_RSRC2:TGID_Y_EN: 0
; COMPUTE_PGM_RSRC2:TGID_Z_EN: 0
; COMPUTE_PGM_RSRC2:TIDIG_COMP_CNT: 0
	.text
	.protected	_Z5printiPN2rw3CutEPi   ; -- Begin function _Z5printiPN2rw3CutEPi
	.globl	_Z5printiPN2rw3CutEPi
	.p2align	8
	.type	_Z5printiPN2rw3CutEPi,@function
_Z5printiPN2rw3CutEPi:                  ; @_Z5printiPN2rw3CutEPi
; %bb.0:
	s_load_b32 s22, s[0:1], 0x0
	s_mov_b32 s2, 1
	s_wait_kmcnt 0x0
	s_cmp_lt_i32 s22, 1
	s_cbranch_scc1 .LBB14_216
; %bb.1:
	s_load_b64 s[4:5], s[0:1], 0x8
	v_mbcnt_lo_u32_b32 v38, -1, 0
	v_mov_b64_e32 v[2:3], 0x100000002
	s_get_pc_i64 s[6:7]
	s_add_nc_u64 s[6:7], s[6:7], .str.4@rel64+4
	v_dual_mov_b32 v1, 0 :: v_dual_mov_b32 v4, 33
	v_lshlrev_b32_e32 v32, 6, v38
	s_cmp_lg_u64 s[6:7], 0
	s_add_nc_u64 s[8:9], s[0:1], 24
	s_cselect_b32 s23, -1, 0
	s_mov_b32 s3, 0
	s_branch .LBB14_4
.LBB14_2:                               ;   in Loop: Header=BB14_4 Depth=1
	s_or_b32 exec_lo, exec_lo, s14
.LBB14_3:                               ;   in Loop: Header=BB14_4 Depth=1
	s_wait_xcnt 0x0
	s_add_co_i32 s0, s2, 1
	s_cmp_eq_u32 s2, s22
	s_mov_b32 s2, s0
	s_cbranch_scc1 .LBB14_216
.LBB14_4:                               ; =>This Loop Header: Depth=1
                                        ;     Child Loop BB14_8 Depth 2
                                        ;     Child Loop BB14_16 Depth 2
                                        ;     Child Loop BB14_25 Depth 2
                                        ;     Child Loop BB14_30 Depth 2
                                        ;     Child Loop BB14_114 Depth 2
                                        ;     Child Loop BB14_122 Depth 2
                                        ;     Child Loop BB14_131 Depth 2
                                        ;     Child Loop BB14_136 Depth 2
                                        ;     Child Loop BB14_34 Depth 2
                                        ;       Child Loop BB14_37 Depth 3
                                        ;       Child Loop BB14_44 Depth 3
	;; [unrolled: 1-line block ×11, first 2 shown]
                                        ;     Child Loop BB14_141 Depth 2
                                        ;     Child Loop BB14_149 Depth 2
	;; [unrolled: 1-line block ×12, first 2 shown]
	s_wait_xcnt 0x0
	s_mul_u64 s[0:1], s[2:3], 28
	s_wait_kmcnt 0x0
	s_add_nc_u64 s[0:1], s[4:5], s[0:1]
	global_load_u8 v0, v1, s[0:1] offset:24
	s_wait_loadcnt 0x0
	v_cmp_eq_u32_e32 vcc_lo, 0, v0
	s_cbranch_vccnz .LBB14_3
; %bb.5:                                ;   in Loop: Header=BB14_4 Depth=1
	s_clause 0x1
	global_load_b32 v9, v1, s[0:1] offset:20
	global_load_b32 v8, v1, s[0:1]
	s_load_b64 s[10:11], s[8:9], 0x50
	v_readfirstlane_b32 s0, v38
	v_mov_b64_e32 v[6:7], 0
	s_delay_alu instid0(VALU_DEP_2)
	v_cmp_eq_u32_e64 s0, s0, v38
	s_and_saveexec_b32 s1, s0
	s_cbranch_execz .LBB14_11
; %bb.6:                                ;   in Loop: Header=BB14_4 Depth=1
	s_wait_kmcnt 0x0
	global_load_b64 v[12:13], v1, s[10:11] offset:24 scope:SCOPE_SYS
	s_wait_loadcnt 0x0
	global_inv scope:SCOPE_SYS
	s_clause 0x1
	global_load_b64 v[6:7], v1, s[10:11] offset:40
	global_load_b64 v[10:11], v1, s[10:11]
	s_mov_b32 s12, exec_lo
	s_wait_loadcnt 0x1
	v_and_b32_e32 v6, v6, v12
	v_and_b32_e32 v7, v7, v13
	s_delay_alu instid0(VALU_DEP_1) | instskip(SKIP_1) | instid1(VALU_DEP_1)
	v_mul_u64_e32 v[6:7], 24, v[6:7]
	s_wait_loadcnt 0x0
	v_add_nc_u64_e32 v[6:7], v[10:11], v[6:7]
	global_load_b64 v[10:11], v[6:7], off scope:SCOPE_SYS
	s_wait_xcnt 0x0
	s_wait_loadcnt 0x0
	global_atomic_cmpswap_b64 v[6:7], v1, v[10:13], s[10:11] offset:24 th:TH_ATOMIC_RETURN scope:SCOPE_SYS
	s_wait_loadcnt 0x0
	global_inv scope:SCOPE_SYS
	s_wait_xcnt 0x0
	v_cmpx_ne_u64_e64 v[6:7], v[12:13]
	s_cbranch_execz .LBB14_10
; %bb.7:                                ;   in Loop: Header=BB14_4 Depth=1
	s_mov_b32 s13, 0
.LBB14_8:                               ;   Parent Loop BB14_4 Depth=1
                                        ; =>  This Inner Loop Header: Depth=2
	s_sleep 1
	s_clause 0x1
	global_load_b64 v[10:11], v1, s[10:11] offset:40
	global_load_b64 v[14:15], v1, s[10:11]
	v_mov_b64_e32 v[12:13], v[6:7]
	s_wait_loadcnt 0x1
	s_delay_alu instid0(VALU_DEP_1) | instskip(SKIP_1) | instid1(VALU_DEP_1)
	v_and_b32_e32 v0, v10, v12
	s_wait_loadcnt 0x0
	v_mad_nc_u64_u32 v[6:7], v0, 24, v[14:15]
	s_delay_alu instid0(VALU_DEP_3) | instskip(NEXT) | instid1(VALU_DEP_1)
	v_and_b32_e32 v0, v11, v13
	v_mad_u32 v7, v0, 24, v7
	global_load_b64 v[10:11], v[6:7], off scope:SCOPE_SYS
	s_wait_xcnt 0x0
	s_wait_loadcnt 0x0
	global_atomic_cmpswap_b64 v[6:7], v1, v[10:13], s[10:11] offset:24 th:TH_ATOMIC_RETURN scope:SCOPE_SYS
	s_wait_loadcnt 0x0
	global_inv scope:SCOPE_SYS
	v_cmp_eq_u64_e32 vcc_lo, v[6:7], v[12:13]
	s_or_b32 s13, vcc_lo, s13
	s_wait_xcnt 0x0
	s_and_not1_b32 exec_lo, exec_lo, s13
	s_cbranch_execnz .LBB14_8
; %bb.9:                                ;   in Loop: Header=BB14_4 Depth=1
	s_or_b32 exec_lo, exec_lo, s13
.LBB14_10:                              ;   in Loop: Header=BB14_4 Depth=1
	s_delay_alu instid0(SALU_CYCLE_1)
	s_or_b32 exec_lo, exec_lo, s12
.LBB14_11:                              ;   in Loop: Header=BB14_4 Depth=1
	s_delay_alu instid0(SALU_CYCLE_1)
	s_or_b32 exec_lo, exec_lo, s1
	s_wait_kmcnt 0x0
	s_clause 0x1
	global_load_b64 v[14:15], v1, s[10:11] offset:40
	global_load_b128 v[10:13], v1, s[10:11]
	v_readfirstlane_b32 s12, v6
	v_readfirstlane_b32 s13, v7
	s_mov_b32 s1, exec_lo
	s_wait_loadcnt 0x1
	v_and_b32_e32 v6, s12, v14
	v_and_b32_e32 v7, s13, v15
	s_delay_alu instid0(VALU_DEP_1) | instskip(SKIP_1) | instid1(VALU_DEP_1)
	v_mul_u64_e32 v[14:15], 24, v[6:7]
	s_wait_loadcnt 0x0
	v_add_nc_u64_e32 v[14:15], v[10:11], v[14:15]
	s_wait_xcnt 0x0
	s_and_saveexec_b32 s14, s0
	s_cbranch_execz .LBB14_13
; %bb.12:                               ;   in Loop: Header=BB14_4 Depth=1
	v_mov_b32_e32 v0, s1
	global_store_b128 v[14:15], v[0:3], off offset:8
.LBB14_13:                              ;   in Loop: Header=BB14_4 Depth=1
	s_wait_xcnt 0x0
	s_or_b32 exec_lo, exec_lo, s14
	v_lshlrev_b64_e32 v[6:7], 12, v[6:7]
	s_mov_b32 s18, s3
	s_mov_b32 s19, s3
	;; [unrolled: 1-line block ×4, first 2 shown]
	v_mov_b64_e32 v[20:21], s[18:19]
	v_mov_b64_e32 v[18:19], s[16:17]
	v_add_nc_u64_e32 v[16:17], v[12:13], v[6:7]
	v_dual_mov_b32 v5, v1 :: v_dual_mov_b32 v6, v1
	v_mov_b32_e32 v7, v1
	s_delay_alu instid0(VALU_DEP_3) | instskip(NEXT) | instid1(VALU_DEP_4)
	v_readfirstlane_b32 s14, v16
	v_readfirstlane_b32 s15, v17
	s_clause 0x3
	global_store_b128 v32, v[4:7], s[14:15]
	global_store_b128 v32, v[18:21], s[14:15] offset:16
	global_store_b128 v32, v[18:21], s[14:15] offset:32
	;; [unrolled: 1-line block ×3, first 2 shown]
	s_wait_xcnt 0x0
	s_and_saveexec_b32 s1, s0
	s_cbranch_execz .LBB14_21
; %bb.14:                               ;   in Loop: Header=BB14_4 Depth=1
	s_clause 0x1
	global_load_b64 v[20:21], v1, s[10:11] offset:32 scope:SCOPE_SYS
	global_load_b64 v[6:7], v1, s[10:11] offset:40
	s_mov_b32 s14, exec_lo
	v_dual_mov_b32 v18, s12 :: v_dual_mov_b32 v19, s13
	s_wait_loadcnt 0x0
	v_and_b32_e32 v7, s13, v7
	v_and_b32_e32 v6, s12, v6
	s_delay_alu instid0(VALU_DEP_1) | instskip(NEXT) | instid1(VALU_DEP_1)
	v_mul_u64_e32 v[6:7], 24, v[6:7]
	v_add_nc_u64_e32 v[6:7], v[10:11], v[6:7]
	global_store_b64 v[6:7], v[20:21], off
	global_wb scope:SCOPE_SYS
	s_wait_storecnt 0x0
	s_wait_xcnt 0x0
	global_atomic_cmpswap_b64 v[12:13], v1, v[18:21], s[10:11] offset:32 th:TH_ATOMIC_RETURN scope:SCOPE_SYS
	s_wait_loadcnt 0x0
	s_wait_xcnt 0x0
	v_cmpx_ne_u64_e64 v[12:13], v[20:21]
	s_cbranch_execz .LBB14_17
; %bb.15:                               ;   in Loop: Header=BB14_4 Depth=1
	s_mov_b32 s15, 0
.LBB14_16:                              ;   Parent Loop BB14_4 Depth=1
                                        ; =>  This Inner Loop Header: Depth=2
	v_dual_mov_b32 v10, s12 :: v_dual_mov_b32 v11, s13
	s_sleep 1
	global_store_b64 v[6:7], v[12:13], off
	global_wb scope:SCOPE_SYS
	s_wait_storecnt 0x0
	s_wait_xcnt 0x0
	global_atomic_cmpswap_b64 v[10:11], v1, v[10:13], s[10:11] offset:32 th:TH_ATOMIC_RETURN scope:SCOPE_SYS
	s_wait_loadcnt 0x0
	v_cmp_eq_u64_e32 vcc_lo, v[10:11], v[12:13]
	v_mov_b64_e32 v[12:13], v[10:11]
	s_or_b32 s15, vcc_lo, s15
	s_delay_alu instid0(SALU_CYCLE_1)
	s_and_not1_b32 exec_lo, exec_lo, s15
	s_cbranch_execnz .LBB14_16
.LBB14_17:                              ;   in Loop: Header=BB14_4 Depth=1
	s_or_b32 exec_lo, exec_lo, s14
	global_load_b64 v[6:7], v1, s[10:11] offset:16
	s_mov_b32 s15, exec_lo
	s_mov_b32 s14, exec_lo
	v_mbcnt_lo_u32_b32 v0, s15, 0
	s_wait_xcnt 0x0
	s_delay_alu instid0(VALU_DEP_1)
	v_cmpx_eq_u32_e32 0, v0
	s_cbranch_execz .LBB14_19
; %bb.18:                               ;   in Loop: Header=BB14_4 Depth=1
	s_bcnt1_i32_b32 s15, s15
	s_delay_alu instid0(SALU_CYCLE_1)
	v_mov_b32_e32 v0, s15
	global_wb scope:SCOPE_SYS
	s_wait_loadcnt 0x0
	s_wait_storecnt 0x0
	global_atomic_add_u64 v[6:7], v[0:1], off offset:8 scope:SCOPE_SYS
.LBB14_19:                              ;   in Loop: Header=BB14_4 Depth=1
	s_wait_xcnt 0x0
	s_or_b32 exec_lo, exec_lo, s14
	s_wait_loadcnt 0x0
	global_load_b64 v[10:11], v[6:7], off offset:16
	s_wait_loadcnt 0x0
	v_cmp_eq_u64_e32 vcc_lo, 0, v[10:11]
	s_cbranch_vccnz .LBB14_21
; %bb.20:                               ;   in Loop: Header=BB14_4 Depth=1
	global_load_b32 v0, v[6:7], off offset:24
	s_wait_loadcnt 0x0
	v_readfirstlane_b32 s14, v0
	global_wb scope:SCOPE_SYS
	s_wait_storecnt 0x0
	s_wait_xcnt 0x0
	global_store_b64 v[10:11], v[0:1], off scope:SCOPE_SYS
	s_and_b32 m0, s14, 0xffffff
	s_sendmsg sendmsg(MSG_INTERRUPT)
.LBB14_21:                              ;   in Loop: Header=BB14_4 Depth=1
	s_wait_xcnt 0x0
	s_or_b32 exec_lo, exec_lo, s1
	v_mov_b32_e32 v33, v1
	s_delay_alu instid0(VALU_DEP_1)
	v_add_nc_u64_e32 v[6:7], v[16:17], v[32:33]
	s_branch .LBB14_25
.LBB14_22:                              ;   in Loop: Header=BB14_25 Depth=2
	s_wait_xcnt 0x0
	s_or_b32 exec_lo, exec_lo, s1
	s_delay_alu instid0(VALU_DEP_1)
	v_readfirstlane_b32 s1, v0
	s_cmp_eq_u32 s1, 0
	s_cbranch_scc1 .LBB14_24
; %bb.23:                               ;   in Loop: Header=BB14_25 Depth=2
	s_sleep 1
	s_cbranch_execnz .LBB14_25
	s_branch .LBB14_27
.LBB14_24:                              ;   in Loop: Header=BB14_4 Depth=1
	s_branch .LBB14_27
.LBB14_25:                              ;   Parent Loop BB14_4 Depth=1
                                        ; =>  This Inner Loop Header: Depth=2
	v_mov_b32_e32 v0, 1
	s_and_saveexec_b32 s1, s0
	s_cbranch_execz .LBB14_22
; %bb.26:                               ;   in Loop: Header=BB14_25 Depth=2
	global_load_b32 v0, v[14:15], off offset:20 scope:SCOPE_SYS
	s_wait_loadcnt 0x0
	global_inv scope:SCOPE_SYS
	v_and_b32_e32 v0, 1, v0
	s_branch .LBB14_22
.LBB14_27:                              ;   in Loop: Header=BB14_4 Depth=1
	global_load_b64 v[10:11], v[6:7], off
	s_wait_xcnt 0x0
	s_and_saveexec_b32 s14, s0
	s_cbranch_execz .LBB14_31
; %bb.28:                               ;   in Loop: Header=BB14_4 Depth=1
	s_clause 0x2
	global_load_b64 v[6:7], v1, s[10:11] offset:40
	global_load_b64 v[16:17], v1, s[10:11] offset:24 scope:SCOPE_SYS
	global_load_b64 v[12:13], v1, s[10:11]
	s_wait_loadcnt 0x2
	v_readfirstlane_b32 s16, v6
	v_readfirstlane_b32 s17, v7
	s_add_nc_u64 s[0:1], s[16:17], 1
	s_delay_alu instid0(SALU_CYCLE_1) | instskip(NEXT) | instid1(SALU_CYCLE_1)
	s_add_nc_u64 s[12:13], s[0:1], s[12:13]
	s_cmp_eq_u64 s[12:13], 0
	s_cselect_b32 s1, s1, s13
	s_cselect_b32 s0, s0, s12
	s_delay_alu instid0(SALU_CYCLE_1) | instskip(SKIP_1) | instid1(SALU_CYCLE_1)
	v_dual_mov_b32 v15, s1 :: v_dual_mov_b32 v14, s0
	s_and_b64 s[12:13], s[0:1], s[16:17]
	s_mul_u64 s[12:13], s[12:13], 24
	s_wait_loadcnt 0x0
	v_add_nc_u64_e32 v[6:7], s[12:13], v[12:13]
	global_store_b64 v[6:7], v[16:17], off
	global_wb scope:SCOPE_SYS
	s_wait_storecnt 0x0
	s_wait_xcnt 0x0
	global_atomic_cmpswap_b64 v[14:15], v1, v[14:17], s[10:11] offset:24 th:TH_ATOMIC_RETURN scope:SCOPE_SYS
	s_wait_loadcnt 0x0
	v_cmp_ne_u64_e32 vcc_lo, v[14:15], v[16:17]
	s_wait_xcnt 0x0
	s_and_b32 exec_lo, exec_lo, vcc_lo
	s_cbranch_execz .LBB14_31
; %bb.29:                               ;   in Loop: Header=BB14_4 Depth=1
	s_mov_b32 s12, 0
.LBB14_30:                              ;   Parent Loop BB14_4 Depth=1
                                        ; =>  This Inner Loop Header: Depth=2
	v_dual_mov_b32 v12, s0 :: v_dual_mov_b32 v13, s1
	s_sleep 1
	global_store_b64 v[6:7], v[14:15], off
	global_wb scope:SCOPE_SYS
	s_wait_storecnt 0x0
	s_wait_xcnt 0x0
	global_atomic_cmpswap_b64 v[12:13], v1, v[12:15], s[10:11] offset:24 th:TH_ATOMIC_RETURN scope:SCOPE_SYS
	s_wait_loadcnt 0x0
	v_cmp_eq_u64_e32 vcc_lo, v[12:13], v[14:15]
	s_wait_xcnt 0x0
	v_mov_b64_e32 v[14:15], v[12:13]
	s_or_b32 s12, vcc_lo, s12
	s_delay_alu instid0(SALU_CYCLE_1)
	s_and_not1_b32 exec_lo, exec_lo, s12
	s_cbranch_execnz .LBB14_30
.LBB14_31:                              ;   in Loop: Header=BB14_4 Depth=1
	s_or_b32 exec_lo, exec_lo, s14
	s_delay_alu instid0(SALU_CYCLE_1)
	s_and_b32 vcc_lo, exec_lo, s23
	s_cbranch_vccz .LBB14_110
; %bb.32:                               ;   in Loop: Header=BB14_4 Depth=1
	s_wait_loadcnt 0x0
	v_dual_mov_b32 v13, v11 :: v_dual_bitop2_b32 v6, 2, v10 bitop3:0x40
	v_and_b32_e32 v12, -3, v10
	s_mov_b64 s[12:13], 20
	s_mov_b64 s[14:15], s[6:7]
	s_branch .LBB14_34
.LBB14_33:                              ;   in Loop: Header=BB14_34 Depth=2
	s_or_b32 exec_lo, exec_lo, s20
	s_sub_nc_u64 s[12:13], s[12:13], s[16:17]
	s_add_nc_u64 s[14:15], s[14:15], s[16:17]
	s_cmp_lg_u64 s[12:13], 0
	s_cbranch_scc0 .LBB14_109
.LBB14_34:                              ;   Parent Loop BB14_4 Depth=1
                                        ; =>  This Loop Header: Depth=2
                                        ;       Child Loop BB14_37 Depth 3
                                        ;       Child Loop BB14_44 Depth 3
	;; [unrolled: 1-line block ×11, first 2 shown]
	v_min_u64 v[14:15], s[12:13], 56
	v_cmp_gt_u64_e64 s0, s[12:13], 7
	s_and_b32 vcc_lo, exec_lo, s0
	v_readfirstlane_b32 s16, v14
	v_readfirstlane_b32 s17, v15
	s_cbranch_vccnz .LBB14_39
; %bb.35:                               ;   in Loop: Header=BB14_34 Depth=2
	v_mov_b64_e32 v[14:15], 0
	s_cmp_eq_u64 s[12:13], 0
	s_cbranch_scc1 .LBB14_38
; %bb.36:                               ;   in Loop: Header=BB14_34 Depth=2
	s_mov_b64 s[0:1], 0
	s_mov_b64 s[18:19], 0
.LBB14_37:                              ;   Parent Loop BB14_4 Depth=1
                                        ;     Parent Loop BB14_34 Depth=2
                                        ; =>    This Inner Loop Header: Depth=3
	s_wait_xcnt 0x0
	s_add_nc_u64 s[20:21], s[14:15], s[18:19]
	s_add_nc_u64 s[18:19], s[18:19], 1
	global_load_u8 v0, v1, s[20:21]
	s_cmp_lg_u32 s16, s18
	s_wait_loadcnt 0x0
	v_and_b32_e32 v0, 0xffff, v0
	s_delay_alu instid0(VALU_DEP_1) | instskip(SKIP_1) | instid1(VALU_DEP_1)
	v_lshlrev_b64_e32 v[16:17], s0, v[0:1]
	s_add_nc_u64 s[0:1], s[0:1], 8
	v_or_b32_e32 v14, v16, v14
	s_delay_alu instid0(VALU_DEP_2)
	v_or_b32_e32 v15, v17, v15
	s_cbranch_scc1 .LBB14_37
.LBB14_38:                              ;   in Loop: Header=BB14_34 Depth=2
	s_mov_b64 s[0:1], s[14:15]
	s_mov_b32 s24, 0
	s_cbranch_execz .LBB14_40
	s_branch .LBB14_41
.LBB14_39:                              ;   in Loop: Header=BB14_34 Depth=2
	s_add_nc_u64 s[0:1], s[14:15], 8
	s_mov_b32 s24, 0
.LBB14_40:                              ;   in Loop: Header=BB14_34 Depth=2
	global_load_b64 v[14:15], v1, s[14:15]
	s_add_co_i32 s24, s16, -8
.LBB14_41:                              ;   in Loop: Header=BB14_34 Depth=2
	s_delay_alu instid0(SALU_CYCLE_1)
	s_cmp_gt_u32 s24, 7
	s_cbranch_scc1 .LBB14_46
; %bb.42:                               ;   in Loop: Header=BB14_34 Depth=2
	v_mov_b64_e32 v[16:17], 0
	s_cmp_eq_u32 s24, 0
	s_cbranch_scc1 .LBB14_45
; %bb.43:                               ;   in Loop: Header=BB14_34 Depth=2
	s_mov_b64 s[18:19], 0
	s_wait_xcnt 0x0
	s_mov_b64 s[20:21], 0
.LBB14_44:                              ;   Parent Loop BB14_4 Depth=1
                                        ;     Parent Loop BB14_34 Depth=2
                                        ; =>    This Inner Loop Header: Depth=3
	s_wait_xcnt 0x0
	s_add_nc_u64 s[26:27], s[0:1], s[20:21]
	s_add_nc_u64 s[20:21], s[20:21], 1
	global_load_u8 v0, v1, s[26:27]
	s_cmp_lg_u32 s24, s20
	s_wait_loadcnt 0x0
	v_and_b32_e32 v0, 0xffff, v0
	s_delay_alu instid0(VALU_DEP_1) | instskip(SKIP_1) | instid1(VALU_DEP_1)
	v_lshlrev_b64_e32 v[18:19], s18, v[0:1]
	s_add_nc_u64 s[18:19], s[18:19], 8
	v_or_b32_e32 v16, v18, v16
	s_delay_alu instid0(VALU_DEP_2)
	v_or_b32_e32 v17, v19, v17
	s_cbranch_scc1 .LBB14_44
.LBB14_45:                              ;   in Loop: Header=BB14_34 Depth=2
	s_wait_xcnt 0x0
	s_mov_b64 s[18:19], s[0:1]
	s_mov_b32 s25, 0
	s_cbranch_execz .LBB14_47
	s_branch .LBB14_48
.LBB14_46:                              ;   in Loop: Header=BB14_34 Depth=2
	s_add_nc_u64 s[18:19], s[0:1], 8
	s_wait_xcnt 0x0
                                        ; implicit-def: $vgpr16_vgpr17
	s_mov_b32 s25, 0
.LBB14_47:                              ;   in Loop: Header=BB14_34 Depth=2
	global_load_b64 v[16:17], v1, s[0:1]
	s_add_co_i32 s25, s24, -8
.LBB14_48:                              ;   in Loop: Header=BB14_34 Depth=2
	s_delay_alu instid0(SALU_CYCLE_1)
	s_cmp_gt_u32 s25, 7
	s_cbranch_scc1 .LBB14_53
; %bb.49:                               ;   in Loop: Header=BB14_34 Depth=2
	v_mov_b64_e32 v[18:19], 0
	s_cmp_eq_u32 s25, 0
	s_cbranch_scc1 .LBB14_52
; %bb.50:                               ;   in Loop: Header=BB14_34 Depth=2
	s_wait_xcnt 0x0
	s_mov_b64 s[0:1], 0
	s_mov_b64 s[20:21], 0
.LBB14_51:                              ;   Parent Loop BB14_4 Depth=1
                                        ;     Parent Loop BB14_34 Depth=2
                                        ; =>    This Inner Loop Header: Depth=3
	s_wait_xcnt 0x0
	s_add_nc_u64 s[26:27], s[18:19], s[20:21]
	s_add_nc_u64 s[20:21], s[20:21], 1
	global_load_u8 v0, v1, s[26:27]
	s_cmp_lg_u32 s25, s20
	s_wait_loadcnt 0x0
	v_and_b32_e32 v0, 0xffff, v0
	s_delay_alu instid0(VALU_DEP_1) | instskip(SKIP_1) | instid1(VALU_DEP_1)
	v_lshlrev_b64_e32 v[20:21], s0, v[0:1]
	s_add_nc_u64 s[0:1], s[0:1], 8
	v_or_b32_e32 v18, v20, v18
	s_delay_alu instid0(VALU_DEP_2)
	v_or_b32_e32 v19, v21, v19
	s_cbranch_scc1 .LBB14_51
.LBB14_52:                              ;   in Loop: Header=BB14_34 Depth=2
	s_wait_xcnt 0x0
	s_mov_b64 s[0:1], s[18:19]
	s_mov_b32 s24, 0
	s_cbranch_execz .LBB14_54
	s_branch .LBB14_55
.LBB14_53:                              ;   in Loop: Header=BB14_34 Depth=2
	s_wait_xcnt 0x0
	s_add_nc_u64 s[0:1], s[18:19], 8
	s_mov_b32 s24, 0
.LBB14_54:                              ;   in Loop: Header=BB14_34 Depth=2
	global_load_b64 v[18:19], v1, s[18:19]
	s_add_co_i32 s24, s25, -8
.LBB14_55:                              ;   in Loop: Header=BB14_34 Depth=2
	s_delay_alu instid0(SALU_CYCLE_1)
	s_cmp_gt_u32 s24, 7
	s_cbranch_scc1 .LBB14_60
; %bb.56:                               ;   in Loop: Header=BB14_34 Depth=2
	v_mov_b64_e32 v[20:21], 0
	s_cmp_eq_u32 s24, 0
	s_cbranch_scc1 .LBB14_59
; %bb.57:                               ;   in Loop: Header=BB14_34 Depth=2
	s_wait_xcnt 0x0
	s_mov_b64 s[18:19], 0
	s_mov_b64 s[20:21], 0
.LBB14_58:                              ;   Parent Loop BB14_4 Depth=1
                                        ;     Parent Loop BB14_34 Depth=2
                                        ; =>    This Inner Loop Header: Depth=3
	s_wait_xcnt 0x0
	s_add_nc_u64 s[26:27], s[0:1], s[20:21]
	s_add_nc_u64 s[20:21], s[20:21], 1
	global_load_u8 v0, v1, s[26:27]
	s_cmp_lg_u32 s24, s20
	s_wait_loadcnt 0x0
	v_and_b32_e32 v0, 0xffff, v0
	s_delay_alu instid0(VALU_DEP_1) | instskip(SKIP_1) | instid1(VALU_DEP_1)
	v_lshlrev_b64_e32 v[22:23], s18, v[0:1]
	s_add_nc_u64 s[18:19], s[18:19], 8
	v_or_b32_e32 v20, v22, v20
	s_delay_alu instid0(VALU_DEP_2)
	v_or_b32_e32 v21, v23, v21
	s_cbranch_scc1 .LBB14_58
.LBB14_59:                              ;   in Loop: Header=BB14_34 Depth=2
	s_wait_xcnt 0x0
	s_mov_b64 s[18:19], s[0:1]
	s_mov_b32 s25, 0
	s_cbranch_execz .LBB14_61
	s_branch .LBB14_62
.LBB14_60:                              ;   in Loop: Header=BB14_34 Depth=2
	s_wait_xcnt 0x0
	s_add_nc_u64 s[18:19], s[0:1], 8
                                        ; implicit-def: $vgpr20_vgpr21
	s_mov_b32 s25, 0
.LBB14_61:                              ;   in Loop: Header=BB14_34 Depth=2
	global_load_b64 v[20:21], v1, s[0:1]
	s_add_co_i32 s25, s24, -8
.LBB14_62:                              ;   in Loop: Header=BB14_34 Depth=2
	s_delay_alu instid0(SALU_CYCLE_1)
	s_cmp_gt_u32 s25, 7
	s_cbranch_scc1 .LBB14_67
; %bb.63:                               ;   in Loop: Header=BB14_34 Depth=2
	v_mov_b64_e32 v[22:23], 0
	s_cmp_eq_u32 s25, 0
	s_cbranch_scc1 .LBB14_66
; %bb.64:                               ;   in Loop: Header=BB14_34 Depth=2
	s_wait_xcnt 0x0
	s_mov_b64 s[0:1], 0
	s_mov_b64 s[20:21], 0
.LBB14_65:                              ;   Parent Loop BB14_4 Depth=1
                                        ;     Parent Loop BB14_34 Depth=2
                                        ; =>    This Inner Loop Header: Depth=3
	s_wait_xcnt 0x0
	s_add_nc_u64 s[26:27], s[18:19], s[20:21]
	s_add_nc_u64 s[20:21], s[20:21], 1
	global_load_u8 v0, v1, s[26:27]
	s_cmp_lg_u32 s25, s20
	s_wait_loadcnt 0x0
	v_and_b32_e32 v0, 0xffff, v0
	s_delay_alu instid0(VALU_DEP_1) | instskip(SKIP_1) | instid1(VALU_DEP_1)
	v_lshlrev_b64_e32 v[24:25], s0, v[0:1]
	s_add_nc_u64 s[0:1], s[0:1], 8
	v_or_b32_e32 v22, v24, v22
	s_delay_alu instid0(VALU_DEP_2)
	v_or_b32_e32 v23, v25, v23
	s_cbranch_scc1 .LBB14_65
.LBB14_66:                              ;   in Loop: Header=BB14_34 Depth=2
	s_wait_xcnt 0x0
	s_mov_b64 s[0:1], s[18:19]
	s_mov_b32 s24, 0
	s_cbranch_execz .LBB14_68
	s_branch .LBB14_69
.LBB14_67:                              ;   in Loop: Header=BB14_34 Depth=2
	s_wait_xcnt 0x0
	s_add_nc_u64 s[0:1], s[18:19], 8
	s_mov_b32 s24, 0
.LBB14_68:                              ;   in Loop: Header=BB14_34 Depth=2
	global_load_b64 v[22:23], v1, s[18:19]
	s_add_co_i32 s24, s25, -8
.LBB14_69:                              ;   in Loop: Header=BB14_34 Depth=2
	s_delay_alu instid0(SALU_CYCLE_1)
	s_cmp_gt_u32 s24, 7
	s_cbranch_scc1 .LBB14_74
; %bb.70:                               ;   in Loop: Header=BB14_34 Depth=2
	v_mov_b64_e32 v[24:25], 0
	s_cmp_eq_u32 s24, 0
	s_cbranch_scc1 .LBB14_73
; %bb.71:                               ;   in Loop: Header=BB14_34 Depth=2
	s_wait_xcnt 0x0
	s_mov_b64 s[18:19], 0
	s_mov_b64 s[20:21], 0
.LBB14_72:                              ;   Parent Loop BB14_4 Depth=1
                                        ;     Parent Loop BB14_34 Depth=2
                                        ; =>    This Inner Loop Header: Depth=3
	s_wait_xcnt 0x0
	s_add_nc_u64 s[26:27], s[0:1], s[20:21]
	s_add_nc_u64 s[20:21], s[20:21], 1
	global_load_u8 v0, v1, s[26:27]
	s_cmp_lg_u32 s24, s20
	s_wait_loadcnt 0x0
	v_and_b32_e32 v0, 0xffff, v0
	s_delay_alu instid0(VALU_DEP_1) | instskip(SKIP_1) | instid1(VALU_DEP_1)
	v_lshlrev_b64_e32 v[26:27], s18, v[0:1]
	s_add_nc_u64 s[18:19], s[18:19], 8
	v_or_b32_e32 v24, v26, v24
	s_delay_alu instid0(VALU_DEP_2)
	v_or_b32_e32 v25, v27, v25
	s_cbranch_scc1 .LBB14_72
.LBB14_73:                              ;   in Loop: Header=BB14_34 Depth=2
	s_wait_xcnt 0x0
	s_mov_b64 s[18:19], s[0:1]
	s_mov_b32 s25, 0
	s_cbranch_execz .LBB14_75
	s_branch .LBB14_76
.LBB14_74:                              ;   in Loop: Header=BB14_34 Depth=2
	s_wait_xcnt 0x0
	s_add_nc_u64 s[18:19], s[0:1], 8
                                        ; implicit-def: $vgpr24_vgpr25
	s_mov_b32 s25, 0
.LBB14_75:                              ;   in Loop: Header=BB14_34 Depth=2
	global_load_b64 v[24:25], v1, s[0:1]
	s_add_co_i32 s25, s24, -8
.LBB14_76:                              ;   in Loop: Header=BB14_34 Depth=2
	s_delay_alu instid0(SALU_CYCLE_1)
	s_cmp_gt_u32 s25, 7
	s_cbranch_scc1 .LBB14_81
; %bb.77:                               ;   in Loop: Header=BB14_34 Depth=2
	v_mov_b64_e32 v[26:27], 0
	s_cmp_eq_u32 s25, 0
	s_cbranch_scc1 .LBB14_80
; %bb.78:                               ;   in Loop: Header=BB14_34 Depth=2
	s_wait_xcnt 0x0
	s_mov_b64 s[0:1], 0
	s_mov_b64 s[20:21], s[18:19]
.LBB14_79:                              ;   Parent Loop BB14_4 Depth=1
                                        ;     Parent Loop BB14_34 Depth=2
                                        ; =>    This Inner Loop Header: Depth=3
	global_load_u8 v0, v1, s[20:21]
	s_add_co_i32 s25, s25, -1
	s_wait_xcnt 0x0
	s_add_nc_u64 s[20:21], s[20:21], 1
	s_cmp_lg_u32 s25, 0
	s_wait_loadcnt 0x0
	v_and_b32_e32 v0, 0xffff, v0
	s_delay_alu instid0(VALU_DEP_1) | instskip(SKIP_1) | instid1(VALU_DEP_1)
	v_lshlrev_b64_e32 v[28:29], s0, v[0:1]
	s_add_nc_u64 s[0:1], s[0:1], 8
	v_or_b32_e32 v26, v28, v26
	s_delay_alu instid0(VALU_DEP_2)
	v_or_b32_e32 v27, v29, v27
	s_cbranch_scc1 .LBB14_79
.LBB14_80:                              ;   in Loop: Header=BB14_34 Depth=2
	s_wait_xcnt 0x0
	s_cbranch_execz .LBB14_82
	s_branch .LBB14_83
.LBB14_81:                              ;   in Loop: Header=BB14_34 Depth=2
	s_wait_xcnt 0x0
.LBB14_82:                              ;   in Loop: Header=BB14_34 Depth=2
	global_load_b64 v[26:27], v1, s[18:19]
.LBB14_83:                              ;   in Loop: Header=BB14_34 Depth=2
	v_readfirstlane_b32 s0, v38
	v_mov_b64_e32 v[34:35], 0
	s_delay_alu instid0(VALU_DEP_2)
	v_cmp_eq_u32_e64 s0, s0, v38
	s_wait_xcnt 0x0
	s_and_saveexec_b32 s1, s0
	s_cbranch_execz .LBB14_89
; %bb.84:                               ;   in Loop: Header=BB14_34 Depth=2
	global_load_b64 v[30:31], v1, s[10:11] offset:24 scope:SCOPE_SYS
	s_wait_loadcnt 0x0
	global_inv scope:SCOPE_SYS
	s_clause 0x1
	global_load_b64 v[28:29], v1, s[10:11] offset:40
	global_load_b64 v[34:35], v1, s[10:11]
	s_mov_b32 s18, exec_lo
	s_wait_loadcnt 0x1
	v_and_b32_e32 v28, v28, v30
	v_and_b32_e32 v29, v29, v31
	s_delay_alu instid0(VALU_DEP_1) | instskip(SKIP_1) | instid1(VALU_DEP_1)
	v_mul_u64_e32 v[28:29], 24, v[28:29]
	s_wait_loadcnt 0x0
	v_add_nc_u64_e32 v[28:29], v[34:35], v[28:29]
	global_load_b64 v[28:29], v[28:29], off scope:SCOPE_SYS
	s_wait_xcnt 0x0
	s_wait_loadcnt 0x0
	global_atomic_cmpswap_b64 v[34:35], v1, v[28:31], s[10:11] offset:24 th:TH_ATOMIC_RETURN scope:SCOPE_SYS
	s_wait_loadcnt 0x0
	global_inv scope:SCOPE_SYS
	s_wait_xcnt 0x0
	v_cmpx_ne_u64_e64 v[34:35], v[30:31]
	s_cbranch_execz .LBB14_88
; %bb.85:                               ;   in Loop: Header=BB14_34 Depth=2
	s_mov_b32 s19, 0
.LBB14_86:                              ;   Parent Loop BB14_4 Depth=1
                                        ;     Parent Loop BB14_34 Depth=2
                                        ; =>    This Inner Loop Header: Depth=3
	s_sleep 1
	s_clause 0x1
	global_load_b64 v[28:29], v1, s[10:11] offset:40
	global_load_b64 v[36:37], v1, s[10:11]
	v_mov_b64_e32 v[30:31], v[34:35]
	s_wait_loadcnt 0x1
	s_delay_alu instid0(VALU_DEP_1) | instskip(SKIP_1) | instid1(VALU_DEP_1)
	v_and_b32_e32 v0, v28, v30
	s_wait_loadcnt 0x0
	v_mad_nc_u64_u32 v[34:35], v0, 24, v[36:37]
	s_delay_alu instid0(VALU_DEP_3) | instskip(NEXT) | instid1(VALU_DEP_1)
	v_and_b32_e32 v0, v29, v31
	v_mad_u32 v35, v0, 24, v35
	global_load_b64 v[28:29], v[34:35], off scope:SCOPE_SYS
	s_wait_xcnt 0x0
	s_wait_loadcnt 0x0
	global_atomic_cmpswap_b64 v[34:35], v1, v[28:31], s[10:11] offset:24 th:TH_ATOMIC_RETURN scope:SCOPE_SYS
	s_wait_loadcnt 0x0
	global_inv scope:SCOPE_SYS
	v_cmp_eq_u64_e32 vcc_lo, v[34:35], v[30:31]
	s_or_b32 s19, vcc_lo, s19
	s_wait_xcnt 0x0
	s_and_not1_b32 exec_lo, exec_lo, s19
	s_cbranch_execnz .LBB14_86
; %bb.87:                               ;   in Loop: Header=BB14_34 Depth=2
	s_or_b32 exec_lo, exec_lo, s19
.LBB14_88:                              ;   in Loop: Header=BB14_34 Depth=2
	s_delay_alu instid0(SALU_CYCLE_1)
	s_or_b32 exec_lo, exec_lo, s18
.LBB14_89:                              ;   in Loop: Header=BB14_34 Depth=2
	s_delay_alu instid0(SALU_CYCLE_1)
	s_or_b32 exec_lo, exec_lo, s1
	s_clause 0x1
	global_load_b64 v[36:37], v1, s[10:11] offset:40
	global_load_b128 v[28:31], v1, s[10:11]
	v_readfirstlane_b32 s18, v34
	v_readfirstlane_b32 s19, v35
	s_mov_b32 s1, exec_lo
	s_wait_loadcnt 0x1
	v_and_b32_e32 v36, s18, v36
	v_and_b32_e32 v37, s19, v37
	s_delay_alu instid0(VALU_DEP_1) | instskip(SKIP_1) | instid1(VALU_DEP_1)
	v_mul_u64_e32 v[34:35], 24, v[36:37]
	s_wait_loadcnt 0x0
	v_add_nc_u64_e32 v[34:35], v[28:29], v[34:35]
	s_wait_xcnt 0x0
	s_and_saveexec_b32 s20, s0
	s_cbranch_execz .LBB14_91
; %bb.90:                               ;   in Loop: Header=BB14_34 Depth=2
	v_mov_b32_e32 v0, s1
	global_store_b128 v[34:35], v[0:3], off offset:8
.LBB14_91:                              ;   in Loop: Header=BB14_34 Depth=2
	s_wait_xcnt 0x0
	s_or_b32 exec_lo, exec_lo, s20
	v_cmp_lt_u64_e64 vcc_lo, s[12:13], 57
	v_lshlrev_b64_e32 v[36:37], 12, v[36:37]
	v_and_b32_e32 v5, 0xffffff1f, v12
	s_lshl_b32 s1, s16, 2
	s_delay_alu instid0(SALU_CYCLE_1) | instskip(SKIP_1) | instid1(VALU_DEP_3)
	s_add_co_i32 s1, s1, 28
	v_cndmask_b32_e32 v0, 0, v6, vcc_lo
	v_add_nc_u64_e32 v[30:31], v[30:31], v[36:37]
	s_delay_alu instid0(VALU_DEP_2) | instskip(NEXT) | instid1(VALU_DEP_2)
	v_or_b32_e32 v0, v5, v0
	v_readfirstlane_b32 s20, v30
	s_delay_alu instid0(VALU_DEP_3) | instskip(NEXT) | instid1(VALU_DEP_3)
	v_readfirstlane_b32 s21, v31
	v_and_or_b32 v12, 0x1e0, s1, v0
	s_clause 0x3
	global_store_b128 v32, v[12:15], s[20:21]
	global_store_b128 v32, v[16:19], s[20:21] offset:16
	global_store_b128 v32, v[20:23], s[20:21] offset:32
	;; [unrolled: 1-line block ×3, first 2 shown]
	s_wait_xcnt 0x0
	s_and_saveexec_b32 s1, s0
	s_cbranch_execz .LBB14_99
; %bb.92:                               ;   in Loop: Header=BB14_34 Depth=2
	s_clause 0x1
	global_load_b64 v[20:21], v1, s[10:11] offset:32 scope:SCOPE_SYS
	global_load_b64 v[12:13], v1, s[10:11] offset:40
	s_mov_b32 s20, exec_lo
	v_dual_mov_b32 v18, s18 :: v_dual_mov_b32 v19, s19
	s_wait_loadcnt 0x0
	v_and_b32_e32 v13, s19, v13
	v_and_b32_e32 v12, s18, v12
	s_delay_alu instid0(VALU_DEP_1) | instskip(NEXT) | instid1(VALU_DEP_1)
	v_mul_u64_e32 v[12:13], 24, v[12:13]
	v_add_nc_u64_e32 v[16:17], v[28:29], v[12:13]
	global_store_b64 v[16:17], v[20:21], off
	global_wb scope:SCOPE_SYS
	s_wait_storecnt 0x0
	s_wait_xcnt 0x0
	global_atomic_cmpswap_b64 v[14:15], v1, v[18:21], s[10:11] offset:32 th:TH_ATOMIC_RETURN scope:SCOPE_SYS
	s_wait_loadcnt 0x0
	s_wait_xcnt 0x0
	v_cmpx_ne_u64_e64 v[14:15], v[20:21]
	s_cbranch_execz .LBB14_95
; %bb.93:                               ;   in Loop: Header=BB14_34 Depth=2
	s_mov_b32 s21, 0
.LBB14_94:                              ;   Parent Loop BB14_4 Depth=1
                                        ;     Parent Loop BB14_34 Depth=2
                                        ; =>    This Inner Loop Header: Depth=3
	v_dual_mov_b32 v12, s18 :: v_dual_mov_b32 v13, s19
	s_sleep 1
	global_store_b64 v[16:17], v[14:15], off
	global_wb scope:SCOPE_SYS
	s_wait_storecnt 0x0
	s_wait_xcnt 0x0
	global_atomic_cmpswap_b64 v[12:13], v1, v[12:15], s[10:11] offset:32 th:TH_ATOMIC_RETURN scope:SCOPE_SYS
	s_wait_loadcnt 0x0
	v_cmp_eq_u64_e32 vcc_lo, v[12:13], v[14:15]
	s_wait_xcnt 0x0
	v_mov_b64_e32 v[14:15], v[12:13]
	s_or_b32 s21, vcc_lo, s21
	s_delay_alu instid0(SALU_CYCLE_1)
	s_and_not1_b32 exec_lo, exec_lo, s21
	s_cbranch_execnz .LBB14_94
.LBB14_95:                              ;   in Loop: Header=BB14_34 Depth=2
	s_or_b32 exec_lo, exec_lo, s20
	global_load_b64 v[12:13], v1, s[10:11] offset:16
	s_mov_b32 s21, exec_lo
	s_mov_b32 s20, exec_lo
	v_mbcnt_lo_u32_b32 v0, s21, 0
	s_wait_xcnt 0x0
	s_delay_alu instid0(VALU_DEP_1)
	v_cmpx_eq_u32_e32 0, v0
	s_cbranch_execz .LBB14_97
; %bb.96:                               ;   in Loop: Header=BB14_34 Depth=2
	s_bcnt1_i32_b32 s21, s21
	s_delay_alu instid0(SALU_CYCLE_1)
	v_mov_b32_e32 v0, s21
	global_wb scope:SCOPE_SYS
	s_wait_loadcnt 0x0
	s_wait_storecnt 0x0
	global_atomic_add_u64 v[12:13], v[0:1], off offset:8 scope:SCOPE_SYS
.LBB14_97:                              ;   in Loop: Header=BB14_34 Depth=2
	s_wait_xcnt 0x0
	s_or_b32 exec_lo, exec_lo, s20
	s_wait_loadcnt 0x0
	global_load_b64 v[14:15], v[12:13], off offset:16
	s_wait_loadcnt 0x0
	v_cmp_eq_u64_e32 vcc_lo, 0, v[14:15]
	s_cbranch_vccnz .LBB14_99
; %bb.98:                               ;   in Loop: Header=BB14_34 Depth=2
	global_load_b32 v0, v[12:13], off offset:24
	s_wait_loadcnt 0x0
	v_readfirstlane_b32 s20, v0
	global_wb scope:SCOPE_SYS
	s_wait_storecnt 0x0
	s_wait_xcnt 0x0
	global_store_b64 v[14:15], v[0:1], off scope:SCOPE_SYS
	s_and_b32 m0, s20, 0xffffff
	s_sendmsg sendmsg(MSG_INTERRUPT)
.LBB14_99:                              ;   in Loop: Header=BB14_34 Depth=2
	s_wait_xcnt 0x0
	s_or_b32 exec_lo, exec_lo, s1
	v_mov_b32_e32 v33, v1
	s_delay_alu instid0(VALU_DEP_1)
	v_add_nc_u64_e32 v[12:13], v[30:31], v[32:33]
	s_branch .LBB14_103
.LBB14_100:                             ;   in Loop: Header=BB14_103 Depth=3
	s_wait_xcnt 0x0
	s_or_b32 exec_lo, exec_lo, s1
	s_delay_alu instid0(VALU_DEP_1)
	v_readfirstlane_b32 s1, v0
	s_cmp_eq_u32 s1, 0
	s_cbranch_scc1 .LBB14_102
; %bb.101:                              ;   in Loop: Header=BB14_103 Depth=3
	s_sleep 1
	s_cbranch_execnz .LBB14_103
	s_branch .LBB14_105
.LBB14_102:                             ;   in Loop: Header=BB14_34 Depth=2
	s_branch .LBB14_105
.LBB14_103:                             ;   Parent Loop BB14_4 Depth=1
                                        ;     Parent Loop BB14_34 Depth=2
                                        ; =>    This Inner Loop Header: Depth=3
	v_mov_b32_e32 v0, 1
	s_and_saveexec_b32 s1, s0
	s_cbranch_execz .LBB14_100
; %bb.104:                              ;   in Loop: Header=BB14_103 Depth=3
	global_load_b32 v0, v[34:35], off offset:20 scope:SCOPE_SYS
	s_wait_loadcnt 0x0
	global_inv scope:SCOPE_SYS
	v_and_b32_e32 v0, 1, v0
	s_branch .LBB14_100
.LBB14_105:                             ;   in Loop: Header=BB14_34 Depth=2
	global_load_b64 v[12:13], v[12:13], off
	s_wait_xcnt 0x0
	s_and_saveexec_b32 s20, s0
	s_cbranch_execz .LBB14_33
; %bb.106:                              ;   in Loop: Header=BB14_34 Depth=2
	s_clause 0x2
	global_load_b64 v[14:15], v1, s[10:11] offset:40
	global_load_b64 v[22:23], v1, s[10:11] offset:24 scope:SCOPE_SYS
	global_load_b64 v[16:17], v1, s[10:11]
	s_wait_loadcnt 0x2
	v_readfirstlane_b32 s24, v14
	v_readfirstlane_b32 s25, v15
	s_add_nc_u64 s[0:1], s[24:25], 1
	s_delay_alu instid0(SALU_CYCLE_1) | instskip(NEXT) | instid1(SALU_CYCLE_1)
	s_add_nc_u64 s[18:19], s[0:1], s[18:19]
	s_cmp_eq_u64 s[18:19], 0
	s_cselect_b32 s1, s1, s19
	s_cselect_b32 s0, s0, s18
	s_delay_alu instid0(SALU_CYCLE_1) | instskip(SKIP_1) | instid1(SALU_CYCLE_1)
	v_dual_mov_b32 v21, s1 :: v_dual_mov_b32 v20, s0
	s_and_b64 s[18:19], s[0:1], s[24:25]
	s_mul_u64 s[18:19], s[18:19], 24
	s_wait_loadcnt 0x0
	v_add_nc_u64_e32 v[18:19], s[18:19], v[16:17]
	global_store_b64 v[18:19], v[22:23], off
	global_wb scope:SCOPE_SYS
	s_wait_storecnt 0x0
	s_wait_xcnt 0x0
	global_atomic_cmpswap_b64 v[16:17], v1, v[20:23], s[10:11] offset:24 th:TH_ATOMIC_RETURN scope:SCOPE_SYS
	s_wait_loadcnt 0x0
	v_cmp_ne_u64_e32 vcc_lo, v[16:17], v[22:23]
	s_wait_xcnt 0x0
	s_and_b32 exec_lo, exec_lo, vcc_lo
	s_cbranch_execz .LBB14_33
; %bb.107:                              ;   in Loop: Header=BB14_34 Depth=2
	s_mov_b32 s18, 0
.LBB14_108:                             ;   Parent Loop BB14_4 Depth=1
                                        ;     Parent Loop BB14_34 Depth=2
                                        ; =>    This Inner Loop Header: Depth=3
	v_dual_mov_b32 v14, s0 :: v_dual_mov_b32 v15, s1
	s_sleep 1
	global_store_b64 v[18:19], v[16:17], off
	global_wb scope:SCOPE_SYS
	s_wait_storecnt 0x0
	s_wait_xcnt 0x0
	global_atomic_cmpswap_b64 v[14:15], v1, v[14:17], s[10:11] offset:24 th:TH_ATOMIC_RETURN scope:SCOPE_SYS
	s_wait_loadcnt 0x0
	v_cmp_eq_u64_e32 vcc_lo, v[14:15], v[16:17]
	s_wait_xcnt 0x0
	v_mov_b64_e32 v[16:17], v[14:15]
	s_or_b32 s18, vcc_lo, s18
	s_delay_alu instid0(SALU_CYCLE_1)
	s_and_not1_b32 exec_lo, exec_lo, s18
	s_cbranch_execnz .LBB14_108
	s_branch .LBB14_33
.LBB14_109:                             ;   in Loop: Header=BB14_4 Depth=1
	s_branch .LBB14_138
.LBB14_110:                             ;   in Loop: Header=BB14_4 Depth=1
                                        ; implicit-def: $vgpr12_vgpr13
	s_cbranch_execz .LBB14_138
; %bb.111:                              ;   in Loop: Header=BB14_4 Depth=1
	v_readfirstlane_b32 s0, v38
	v_mov_b64_e32 v[6:7], 0
	s_delay_alu instid0(VALU_DEP_2)
	v_cmp_eq_u32_e64 s0, s0, v38
	s_and_saveexec_b32 s1, s0
	s_cbranch_execz .LBB14_117
; %bb.112:                              ;   in Loop: Header=BB14_4 Depth=1
	global_load_b64 v[14:15], v1, s[10:11] offset:24 scope:SCOPE_SYS
	s_wait_loadcnt 0x0
	global_inv scope:SCOPE_SYS
	s_clause 0x1
	global_load_b64 v[6:7], v1, s[10:11] offset:40
	global_load_b64 v[12:13], v1, s[10:11]
	s_mov_b32 s12, exec_lo
	s_wait_loadcnt 0x1
	v_and_b32_e32 v6, v6, v14
	v_and_b32_e32 v7, v7, v15
	s_delay_alu instid0(VALU_DEP_1) | instskip(SKIP_1) | instid1(VALU_DEP_1)
	v_mul_u64_e32 v[6:7], 24, v[6:7]
	s_wait_loadcnt 0x0
	v_add_nc_u64_e32 v[6:7], v[12:13], v[6:7]
	global_load_b64 v[12:13], v[6:7], off scope:SCOPE_SYS
	s_wait_xcnt 0x0
	s_wait_loadcnt 0x0
	global_atomic_cmpswap_b64 v[6:7], v1, v[12:15], s[10:11] offset:24 th:TH_ATOMIC_RETURN scope:SCOPE_SYS
	s_wait_loadcnt 0x0
	global_inv scope:SCOPE_SYS
	s_wait_xcnt 0x0
	v_cmpx_ne_u64_e64 v[6:7], v[14:15]
	s_cbranch_execz .LBB14_116
; %bb.113:                              ;   in Loop: Header=BB14_4 Depth=1
	s_mov_b32 s13, 0
.LBB14_114:                             ;   Parent Loop BB14_4 Depth=1
                                        ; =>  This Inner Loop Header: Depth=2
	s_sleep 1
	s_clause 0x1
	global_load_b64 v[12:13], v1, s[10:11] offset:40
	global_load_b64 v[16:17], v1, s[10:11]
	v_mov_b64_e32 v[14:15], v[6:7]
	s_wait_loadcnt 0x1
	s_delay_alu instid0(VALU_DEP_1) | instskip(SKIP_1) | instid1(VALU_DEP_1)
	v_and_b32_e32 v0, v12, v14
	s_wait_loadcnt 0x0
	v_mad_nc_u64_u32 v[6:7], v0, 24, v[16:17]
	s_delay_alu instid0(VALU_DEP_3) | instskip(NEXT) | instid1(VALU_DEP_1)
	v_and_b32_e32 v0, v13, v15
	v_mad_u32 v7, v0, 24, v7
	global_load_b64 v[12:13], v[6:7], off scope:SCOPE_SYS
	s_wait_xcnt 0x0
	s_wait_loadcnt 0x0
	global_atomic_cmpswap_b64 v[6:7], v1, v[12:15], s[10:11] offset:24 th:TH_ATOMIC_RETURN scope:SCOPE_SYS
	s_wait_loadcnt 0x0
	global_inv scope:SCOPE_SYS
	v_cmp_eq_u64_e32 vcc_lo, v[6:7], v[14:15]
	s_or_b32 s13, vcc_lo, s13
	s_wait_xcnt 0x0
	s_and_not1_b32 exec_lo, exec_lo, s13
	s_cbranch_execnz .LBB14_114
; %bb.115:                              ;   in Loop: Header=BB14_4 Depth=1
	s_or_b32 exec_lo, exec_lo, s13
.LBB14_116:                             ;   in Loop: Header=BB14_4 Depth=1
	s_delay_alu instid0(SALU_CYCLE_1)
	s_or_b32 exec_lo, exec_lo, s12
.LBB14_117:                             ;   in Loop: Header=BB14_4 Depth=1
	s_delay_alu instid0(SALU_CYCLE_1)
	s_or_b32 exec_lo, exec_lo, s1
	s_wait_loadcnt 0x0
	s_clause 0x1
	global_load_b64 v[12:13], v1, s[10:11] offset:40
	global_load_b128 v[14:17], v1, s[10:11]
	v_readfirstlane_b32 s12, v6
	v_readfirstlane_b32 s13, v7
	s_mov_b32 s1, exec_lo
	s_wait_loadcnt 0x1
	v_and_b32_e32 v12, s12, v12
	v_and_b32_e32 v13, s13, v13
	s_delay_alu instid0(VALU_DEP_1) | instskip(SKIP_1) | instid1(VALU_DEP_1)
	v_mul_u64_e32 v[6:7], 24, v[12:13]
	s_wait_loadcnt 0x0
	v_add_nc_u64_e32 v[6:7], v[14:15], v[6:7]
	s_wait_xcnt 0x0
	s_and_saveexec_b32 s14, s0
	s_cbranch_execz .LBB14_119
; %bb.118:                              ;   in Loop: Header=BB14_4 Depth=1
	v_mov_b32_e32 v0, s1
	global_store_b128 v[6:7], v[0:3], off offset:8
.LBB14_119:                             ;   in Loop: Header=BB14_4 Depth=1
	s_wait_xcnt 0x0
	s_or_b32 exec_lo, exec_lo, s14
	v_lshlrev_b64_e32 v[12:13], 12, v[12:13]
	s_mov_b32 s18, s3
	s_mov_b32 s19, s3
	;; [unrolled: 1-line block ×4, first 2 shown]
	v_mov_b64_e32 v[20:21], s[18:19]
	v_mov_b64_e32 v[18:19], s[16:17]
	v_add_nc_u64_e32 v[16:17], v[16:17], v[12:13]
	v_and_or_b32 v10, 0xffffff1f, v10, 32
	v_dual_mov_b32 v12, v1 :: v_dual_mov_b32 v13, v1
	s_delay_alu instid0(VALU_DEP_3) | instskip(NEXT) | instid1(VALU_DEP_4)
	v_readfirstlane_b32 s14, v16
	v_readfirstlane_b32 s15, v17
	s_clause 0x3
	global_store_b128 v32, v[10:13], s[14:15]
	global_store_b128 v32, v[18:21], s[14:15] offset:16
	global_store_b128 v32, v[18:21], s[14:15] offset:32
	;; [unrolled: 1-line block ×3, first 2 shown]
	s_wait_xcnt 0x0
	s_and_saveexec_b32 s1, s0
	s_cbranch_execz .LBB14_127
; %bb.120:                              ;   in Loop: Header=BB14_4 Depth=1
	s_clause 0x1
	global_load_b64 v[20:21], v1, s[10:11] offset:32 scope:SCOPE_SYS
	global_load_b64 v[10:11], v1, s[10:11] offset:40
	s_mov_b32 s14, exec_lo
	v_dual_mov_b32 v18, s12 :: v_dual_mov_b32 v19, s13
	s_wait_loadcnt 0x0
	v_and_b32_e32 v11, s13, v11
	v_and_b32_e32 v10, s12, v10
	s_delay_alu instid0(VALU_DEP_1) | instskip(NEXT) | instid1(VALU_DEP_1)
	v_mul_u64_e32 v[10:11], 24, v[10:11]
	v_add_nc_u64_e32 v[14:15], v[14:15], v[10:11]
	global_store_b64 v[14:15], v[20:21], off
	global_wb scope:SCOPE_SYS
	s_wait_storecnt 0x0
	s_wait_xcnt 0x0
	global_atomic_cmpswap_b64 v[12:13], v1, v[18:21], s[10:11] offset:32 th:TH_ATOMIC_RETURN scope:SCOPE_SYS
	s_wait_loadcnt 0x0
	s_wait_xcnt 0x0
	v_cmpx_ne_u64_e64 v[12:13], v[20:21]
	s_cbranch_execz .LBB14_123
; %bb.121:                              ;   in Loop: Header=BB14_4 Depth=1
	s_mov_b32 s15, 0
.LBB14_122:                             ;   Parent Loop BB14_4 Depth=1
                                        ; =>  This Inner Loop Header: Depth=2
	v_dual_mov_b32 v10, s12 :: v_dual_mov_b32 v11, s13
	s_sleep 1
	global_store_b64 v[14:15], v[12:13], off
	global_wb scope:SCOPE_SYS
	s_wait_storecnt 0x0
	s_wait_xcnt 0x0
	global_atomic_cmpswap_b64 v[10:11], v1, v[10:13], s[10:11] offset:32 th:TH_ATOMIC_RETURN scope:SCOPE_SYS
	s_wait_loadcnt 0x0
	v_cmp_eq_u64_e32 vcc_lo, v[10:11], v[12:13]
	s_wait_xcnt 0x0
	v_mov_b64_e32 v[12:13], v[10:11]
	s_or_b32 s15, vcc_lo, s15
	s_delay_alu instid0(SALU_CYCLE_1)
	s_and_not1_b32 exec_lo, exec_lo, s15
	s_cbranch_execnz .LBB14_122
.LBB14_123:                             ;   in Loop: Header=BB14_4 Depth=1
	s_or_b32 exec_lo, exec_lo, s14
	global_load_b64 v[10:11], v1, s[10:11] offset:16
	s_mov_b32 s15, exec_lo
	s_mov_b32 s14, exec_lo
	v_mbcnt_lo_u32_b32 v0, s15, 0
	s_wait_xcnt 0x0
	s_delay_alu instid0(VALU_DEP_1)
	v_cmpx_eq_u32_e32 0, v0
	s_cbranch_execz .LBB14_125
; %bb.124:                              ;   in Loop: Header=BB14_4 Depth=1
	s_bcnt1_i32_b32 s15, s15
	s_delay_alu instid0(SALU_CYCLE_1)
	v_mov_b32_e32 v0, s15
	global_wb scope:SCOPE_SYS
	s_wait_loadcnt 0x0
	s_wait_storecnt 0x0
	global_atomic_add_u64 v[10:11], v[0:1], off offset:8 scope:SCOPE_SYS
.LBB14_125:                             ;   in Loop: Header=BB14_4 Depth=1
	s_wait_xcnt 0x0
	s_or_b32 exec_lo, exec_lo, s14
	s_wait_loadcnt 0x0
	global_load_b64 v[12:13], v[10:11], off offset:16
	s_wait_loadcnt 0x0
	v_cmp_eq_u64_e32 vcc_lo, 0, v[12:13]
	s_cbranch_vccnz .LBB14_127
; %bb.126:                              ;   in Loop: Header=BB14_4 Depth=1
	global_load_b32 v0, v[10:11], off offset:24
	s_wait_loadcnt 0x0
	v_readfirstlane_b32 s14, v0
	global_wb scope:SCOPE_SYS
	s_wait_storecnt 0x0
	s_wait_xcnt 0x0
	global_store_b64 v[12:13], v[0:1], off scope:SCOPE_SYS
	s_and_b32 m0, s14, 0xffffff
	s_sendmsg sendmsg(MSG_INTERRUPT)
.LBB14_127:                             ;   in Loop: Header=BB14_4 Depth=1
	s_wait_xcnt 0x0
	s_or_b32 exec_lo, exec_lo, s1
	v_mov_b32_e32 v33, v1
	s_delay_alu instid0(VALU_DEP_1)
	v_add_nc_u64_e32 v[10:11], v[16:17], v[32:33]
	s_branch .LBB14_131
.LBB14_128:                             ;   in Loop: Header=BB14_131 Depth=2
	s_wait_xcnt 0x0
	s_or_b32 exec_lo, exec_lo, s1
	s_delay_alu instid0(VALU_DEP_1)
	v_readfirstlane_b32 s1, v0
	s_cmp_eq_u32 s1, 0
	s_cbranch_scc1 .LBB14_130
; %bb.129:                              ;   in Loop: Header=BB14_131 Depth=2
	s_sleep 1
	s_cbranch_execnz .LBB14_131
	s_branch .LBB14_133
.LBB14_130:                             ;   in Loop: Header=BB14_4 Depth=1
	s_branch .LBB14_133
.LBB14_131:                             ;   Parent Loop BB14_4 Depth=1
                                        ; =>  This Inner Loop Header: Depth=2
	v_mov_b32_e32 v0, 1
	s_and_saveexec_b32 s1, s0
	s_cbranch_execz .LBB14_128
; %bb.132:                              ;   in Loop: Header=BB14_131 Depth=2
	global_load_b32 v0, v[6:7], off offset:20 scope:SCOPE_SYS
	s_wait_loadcnt 0x0
	global_inv scope:SCOPE_SYS
	v_and_b32_e32 v0, 1, v0
	s_branch .LBB14_128
.LBB14_133:                             ;   in Loop: Header=BB14_4 Depth=1
	global_load_b64 v[12:13], v[10:11], off
	s_wait_xcnt 0x0
	s_and_saveexec_b32 s14, s0
	s_cbranch_execz .LBB14_137
; %bb.134:                              ;   in Loop: Header=BB14_4 Depth=1
	s_clause 0x2
	global_load_b64 v[6:7], v1, s[10:11] offset:40
	global_load_b64 v[18:19], v1, s[10:11] offset:24 scope:SCOPE_SYS
	global_load_b64 v[10:11], v1, s[10:11]
	s_wait_loadcnt 0x2
	v_readfirstlane_b32 s16, v6
	v_readfirstlane_b32 s17, v7
	s_add_nc_u64 s[0:1], s[16:17], 1
	s_delay_alu instid0(SALU_CYCLE_1) | instskip(NEXT) | instid1(SALU_CYCLE_1)
	s_add_nc_u64 s[12:13], s[0:1], s[12:13]
	s_cmp_eq_u64 s[12:13], 0
	s_cselect_b32 s1, s1, s13
	s_cselect_b32 s0, s0, s12
	s_delay_alu instid0(SALU_CYCLE_1) | instskip(SKIP_1) | instid1(SALU_CYCLE_1)
	v_dual_mov_b32 v17, s1 :: v_dual_mov_b32 v16, s0
	s_and_b64 s[12:13], s[0:1], s[16:17]
	s_mul_u64 s[12:13], s[12:13], 24
	s_wait_loadcnt 0x0
	v_add_nc_u64_e32 v[6:7], s[12:13], v[10:11]
	global_store_b64 v[6:7], v[18:19], off
	global_wb scope:SCOPE_SYS
	s_wait_storecnt 0x0
	s_wait_xcnt 0x0
	global_atomic_cmpswap_b64 v[16:17], v1, v[16:19], s[10:11] offset:24 th:TH_ATOMIC_RETURN scope:SCOPE_SYS
	s_wait_loadcnt 0x0
	v_cmp_ne_u64_e32 vcc_lo, v[16:17], v[18:19]
	s_wait_xcnt 0x0
	s_and_b32 exec_lo, exec_lo, vcc_lo
	s_cbranch_execz .LBB14_137
; %bb.135:                              ;   in Loop: Header=BB14_4 Depth=1
	s_mov_b32 s12, 0
.LBB14_136:                             ;   Parent Loop BB14_4 Depth=1
                                        ; =>  This Inner Loop Header: Depth=2
	v_dual_mov_b32 v14, s0 :: v_dual_mov_b32 v15, s1
	s_sleep 1
	global_store_b64 v[6:7], v[16:17], off
	global_wb scope:SCOPE_SYS
	s_wait_storecnt 0x0
	s_wait_xcnt 0x0
	global_atomic_cmpswap_b64 v[10:11], v1, v[14:17], s[10:11] offset:24 th:TH_ATOMIC_RETURN scope:SCOPE_SYS
	s_wait_loadcnt 0x0
	v_cmp_eq_u64_e32 vcc_lo, v[10:11], v[16:17]
	s_wait_xcnt 0x0
	v_mov_b64_e32 v[16:17], v[10:11]
	s_or_b32 s12, vcc_lo, s12
	s_delay_alu instid0(SALU_CYCLE_1)
	s_and_not1_b32 exec_lo, exec_lo, s12
	s_cbranch_execnz .LBB14_136
.LBB14_137:                             ;   in Loop: Header=BB14_4 Depth=1
	s_or_b32 exec_lo, exec_lo, s14
.LBB14_138:                             ;   in Loop: Header=BB14_4 Depth=1
	v_readfirstlane_b32 s0, v38
	v_mov_b64_e32 v[6:7], 0
	s_delay_alu instid0(VALU_DEP_2)
	v_cmp_eq_u32_e64 s0, s0, v38
	s_and_saveexec_b32 s1, s0
	s_cbranch_execz .LBB14_144
; %bb.139:                              ;   in Loop: Header=BB14_4 Depth=1
	global_load_b64 v[16:17], v1, s[10:11] offset:24 scope:SCOPE_SYS
	s_wait_loadcnt 0x0
	global_inv scope:SCOPE_SYS
	s_clause 0x1
	global_load_b64 v[6:7], v1, s[10:11] offset:40
	global_load_b64 v[10:11], v1, s[10:11]
	s_mov_b32 s12, exec_lo
	s_wait_loadcnt 0x1
	v_and_b32_e32 v6, v6, v16
	v_and_b32_e32 v7, v7, v17
	s_delay_alu instid0(VALU_DEP_1) | instskip(SKIP_1) | instid1(VALU_DEP_1)
	v_mul_u64_e32 v[6:7], 24, v[6:7]
	s_wait_loadcnt 0x0
	v_add_nc_u64_e32 v[6:7], v[10:11], v[6:7]
	global_load_b64 v[14:15], v[6:7], off scope:SCOPE_SYS
	s_wait_xcnt 0x0
	s_wait_loadcnt 0x0
	global_atomic_cmpswap_b64 v[6:7], v1, v[14:17], s[10:11] offset:24 th:TH_ATOMIC_RETURN scope:SCOPE_SYS
	s_wait_loadcnt 0x0
	global_inv scope:SCOPE_SYS
	s_wait_xcnt 0x0
	v_cmpx_ne_u64_e64 v[6:7], v[16:17]
	s_cbranch_execz .LBB14_143
; %bb.140:                              ;   in Loop: Header=BB14_4 Depth=1
	s_mov_b32 s13, 0
.LBB14_141:                             ;   Parent Loop BB14_4 Depth=1
                                        ; =>  This Inner Loop Header: Depth=2
	s_sleep 1
	s_clause 0x1
	global_load_b64 v[10:11], v1, s[10:11] offset:40
	global_load_b64 v[14:15], v1, s[10:11]
	v_mov_b64_e32 v[16:17], v[6:7]
	s_wait_loadcnt 0x1
	s_delay_alu instid0(VALU_DEP_1) | instskip(SKIP_1) | instid1(VALU_DEP_1)
	v_and_b32_e32 v0, v10, v16
	s_wait_loadcnt 0x0
	v_mad_nc_u64_u32 v[6:7], v0, 24, v[14:15]
	s_delay_alu instid0(VALU_DEP_3) | instskip(NEXT) | instid1(VALU_DEP_1)
	v_and_b32_e32 v0, v11, v17
	v_mad_u32 v7, v0, 24, v7
	global_load_b64 v[14:15], v[6:7], off scope:SCOPE_SYS
	s_wait_xcnt 0x0
	s_wait_loadcnt 0x0
	global_atomic_cmpswap_b64 v[6:7], v1, v[14:17], s[10:11] offset:24 th:TH_ATOMIC_RETURN scope:SCOPE_SYS
	s_wait_loadcnt 0x0
	global_inv scope:SCOPE_SYS
	v_cmp_eq_u64_e32 vcc_lo, v[6:7], v[16:17]
	s_or_b32 s13, vcc_lo, s13
	s_wait_xcnt 0x0
	s_and_not1_b32 exec_lo, exec_lo, s13
	s_cbranch_execnz .LBB14_141
; %bb.142:                              ;   in Loop: Header=BB14_4 Depth=1
	s_or_b32 exec_lo, exec_lo, s13
.LBB14_143:                             ;   in Loop: Header=BB14_4 Depth=1
	s_delay_alu instid0(SALU_CYCLE_1)
	s_or_b32 exec_lo, exec_lo, s12
.LBB14_144:                             ;   in Loop: Header=BB14_4 Depth=1
	s_delay_alu instid0(SALU_CYCLE_1)
	s_or_b32 exec_lo, exec_lo, s1
	s_wait_loadcnt 0x0
	s_clause 0x1
	global_load_b64 v[10:11], v1, s[10:11] offset:40
	global_load_b128 v[16:19], v1, s[10:11]
	v_readfirstlane_b32 s12, v6
	v_readfirstlane_b32 s13, v7
	s_mov_b32 s1, exec_lo
	s_wait_loadcnt 0x1
	v_and_b32_e32 v10, s12, v10
	v_and_b32_e32 v11, s13, v11
	s_delay_alu instid0(VALU_DEP_1) | instskip(SKIP_1) | instid1(VALU_DEP_1)
	v_mul_u64_e32 v[6:7], 24, v[10:11]
	s_wait_loadcnt 0x0
	v_add_nc_u64_e32 v[6:7], v[16:17], v[6:7]
	s_wait_xcnt 0x0
	s_and_saveexec_b32 s14, s0
	s_cbranch_execz .LBB14_146
; %bb.145:                              ;   in Loop: Header=BB14_4 Depth=1
	v_mov_b32_e32 v0, s1
	global_store_b128 v[6:7], v[0:3], off offset:8
.LBB14_146:                             ;   in Loop: Header=BB14_4 Depth=1
	s_wait_xcnt 0x0
	s_or_b32 exec_lo, exec_lo, s14
	v_lshlrev_b64_e32 v[10:11], 12, v[10:11]
	s_mov_b32 s18, s3
	s_mov_b32 s19, s3
	;; [unrolled: 1-line block ×4, first 2 shown]
	v_mov_b64_e32 v[22:23], s[18:19]
	v_mov_b64_e32 v[20:21], s[16:17]
	v_add_nc_u64_e32 v[18:19], v[18:19], v[10:11]
	v_and_or_b32 v12, 0xffffff1f, v12, 32
	v_dual_mov_b32 v14, s2 :: v_dual_mov_b32 v15, v1
	s_delay_alu instid0(VALU_DEP_3) | instskip(NEXT) | instid1(VALU_DEP_4)
	v_readfirstlane_b32 s14, v18
	v_readfirstlane_b32 s15, v19
	s_clause 0x3
	global_store_b128 v32, v[12:15], s[14:15]
	global_store_b128 v32, v[20:23], s[14:15] offset:16
	global_store_b128 v32, v[20:23], s[14:15] offset:32
	;; [unrolled: 1-line block ×3, first 2 shown]
	s_wait_xcnt 0x0
	s_and_saveexec_b32 s1, s0
	s_cbranch_execz .LBB14_154
; %bb.147:                              ;   in Loop: Header=BB14_4 Depth=1
	s_clause 0x1
	global_load_b64 v[22:23], v1, s[10:11] offset:32 scope:SCOPE_SYS
	global_load_b64 v[10:11], v1, s[10:11] offset:40
	s_mov_b32 s14, exec_lo
	v_dual_mov_b32 v20, s12 :: v_dual_mov_b32 v21, s13
	s_wait_loadcnt 0x0
	v_and_b32_e32 v11, s13, v11
	v_and_b32_e32 v10, s12, v10
	s_delay_alu instid0(VALU_DEP_1) | instskip(NEXT) | instid1(VALU_DEP_1)
	v_mul_u64_e32 v[10:11], 24, v[10:11]
	v_add_nc_u64_e32 v[14:15], v[16:17], v[10:11]
	global_store_b64 v[14:15], v[22:23], off
	global_wb scope:SCOPE_SYS
	s_wait_storecnt 0x0
	s_wait_xcnt 0x0
	global_atomic_cmpswap_b64 v[12:13], v1, v[20:23], s[10:11] offset:32 th:TH_ATOMIC_RETURN scope:SCOPE_SYS
	s_wait_loadcnt 0x0
	s_wait_xcnt 0x0
	v_cmpx_ne_u64_e64 v[12:13], v[22:23]
	s_cbranch_execz .LBB14_150
; %bb.148:                              ;   in Loop: Header=BB14_4 Depth=1
	s_mov_b32 s15, 0
.LBB14_149:                             ;   Parent Loop BB14_4 Depth=1
                                        ; =>  This Inner Loop Header: Depth=2
	v_dual_mov_b32 v10, s12 :: v_dual_mov_b32 v11, s13
	s_sleep 1
	global_store_b64 v[14:15], v[12:13], off
	global_wb scope:SCOPE_SYS
	s_wait_storecnt 0x0
	s_wait_xcnt 0x0
	global_atomic_cmpswap_b64 v[10:11], v1, v[10:13], s[10:11] offset:32 th:TH_ATOMIC_RETURN scope:SCOPE_SYS
	s_wait_loadcnt 0x0
	v_cmp_eq_u64_e32 vcc_lo, v[10:11], v[12:13]
	s_wait_xcnt 0x0
	v_mov_b64_e32 v[12:13], v[10:11]
	s_or_b32 s15, vcc_lo, s15
	s_delay_alu instid0(SALU_CYCLE_1)
	s_and_not1_b32 exec_lo, exec_lo, s15
	s_cbranch_execnz .LBB14_149
.LBB14_150:                             ;   in Loop: Header=BB14_4 Depth=1
	s_or_b32 exec_lo, exec_lo, s14
	global_load_b64 v[10:11], v1, s[10:11] offset:16
	s_mov_b32 s15, exec_lo
	s_mov_b32 s14, exec_lo
	v_mbcnt_lo_u32_b32 v0, s15, 0
	s_wait_xcnt 0x0
	s_delay_alu instid0(VALU_DEP_1)
	v_cmpx_eq_u32_e32 0, v0
	s_cbranch_execz .LBB14_152
; %bb.151:                              ;   in Loop: Header=BB14_4 Depth=1
	s_bcnt1_i32_b32 s15, s15
	s_delay_alu instid0(SALU_CYCLE_1)
	v_mov_b32_e32 v0, s15
	global_wb scope:SCOPE_SYS
	s_wait_loadcnt 0x0
	s_wait_storecnt 0x0
	global_atomic_add_u64 v[10:11], v[0:1], off offset:8 scope:SCOPE_SYS
.LBB14_152:                             ;   in Loop: Header=BB14_4 Depth=1
	s_wait_xcnt 0x0
	s_or_b32 exec_lo, exec_lo, s14
	s_wait_loadcnt 0x0
	global_load_b64 v[12:13], v[10:11], off offset:16
	s_wait_loadcnt 0x0
	v_cmp_eq_u64_e32 vcc_lo, 0, v[12:13]
	s_cbranch_vccnz .LBB14_154
; %bb.153:                              ;   in Loop: Header=BB14_4 Depth=1
	global_load_b32 v0, v[10:11], off offset:24
	s_wait_loadcnt 0x0
	v_readfirstlane_b32 s14, v0
	global_wb scope:SCOPE_SYS
	s_wait_storecnt 0x0
	s_wait_xcnt 0x0
	global_store_b64 v[12:13], v[0:1], off scope:SCOPE_SYS
	s_and_b32 m0, s14, 0xffffff
	s_sendmsg sendmsg(MSG_INTERRUPT)
.LBB14_154:                             ;   in Loop: Header=BB14_4 Depth=1
	s_wait_xcnt 0x0
	s_or_b32 exec_lo, exec_lo, s1
	v_mov_b32_e32 v33, v1
	s_delay_alu instid0(VALU_DEP_1)
	v_add_nc_u64_e32 v[10:11], v[18:19], v[32:33]
	s_branch .LBB14_158
.LBB14_155:                             ;   in Loop: Header=BB14_158 Depth=2
	s_wait_xcnt 0x0
	s_or_b32 exec_lo, exec_lo, s1
	s_delay_alu instid0(VALU_DEP_1)
	v_readfirstlane_b32 s1, v0
	s_cmp_eq_u32 s1, 0
	s_cbranch_scc1 .LBB14_157
; %bb.156:                              ;   in Loop: Header=BB14_158 Depth=2
	s_sleep 1
	s_cbranch_execnz .LBB14_158
	s_branch .LBB14_160
.LBB14_157:                             ;   in Loop: Header=BB14_4 Depth=1
	s_branch .LBB14_160
.LBB14_158:                             ;   Parent Loop BB14_4 Depth=1
                                        ; =>  This Inner Loop Header: Depth=2
	v_mov_b32_e32 v0, 1
	s_and_saveexec_b32 s1, s0
	s_cbranch_execz .LBB14_155
; %bb.159:                              ;   in Loop: Header=BB14_158 Depth=2
	global_load_b32 v0, v[6:7], off offset:20 scope:SCOPE_SYS
	s_wait_loadcnt 0x0
	global_inv scope:SCOPE_SYS
	v_and_b32_e32 v0, 1, v0
	s_branch .LBB14_155
.LBB14_160:                             ;   in Loop: Header=BB14_4 Depth=1
	global_load_b64 v[10:11], v[10:11], off
	s_wait_xcnt 0x0
	s_and_saveexec_b32 s14, s0
	s_cbranch_execz .LBB14_164
; %bb.161:                              ;   in Loop: Header=BB14_4 Depth=1
	s_clause 0x2
	global_load_b64 v[6:7], v1, s[10:11] offset:40
	global_load_b64 v[16:17], v1, s[10:11] offset:24 scope:SCOPE_SYS
	global_load_b64 v[12:13], v1, s[10:11]
	s_wait_loadcnt 0x2
	v_readfirstlane_b32 s16, v6
	v_readfirstlane_b32 s17, v7
	s_add_nc_u64 s[0:1], s[16:17], 1
	s_delay_alu instid0(SALU_CYCLE_1) | instskip(NEXT) | instid1(SALU_CYCLE_1)
	s_add_nc_u64 s[12:13], s[0:1], s[12:13]
	s_cmp_eq_u64 s[12:13], 0
	s_cselect_b32 s1, s1, s13
	s_cselect_b32 s0, s0, s12
	s_delay_alu instid0(SALU_CYCLE_1) | instskip(SKIP_1) | instid1(SALU_CYCLE_1)
	v_dual_mov_b32 v15, s1 :: v_dual_mov_b32 v14, s0
	s_and_b64 s[12:13], s[0:1], s[16:17]
	s_mul_u64 s[12:13], s[12:13], 24
	s_wait_loadcnt 0x0
	v_add_nc_u64_e32 v[6:7], s[12:13], v[12:13]
	global_store_b64 v[6:7], v[16:17], off
	global_wb scope:SCOPE_SYS
	s_wait_storecnt 0x0
	s_wait_xcnt 0x0
	global_atomic_cmpswap_b64 v[14:15], v1, v[14:17], s[10:11] offset:24 th:TH_ATOMIC_RETURN scope:SCOPE_SYS
	s_wait_loadcnt 0x0
	v_cmp_ne_u64_e32 vcc_lo, v[14:15], v[16:17]
	s_wait_xcnt 0x0
	s_and_b32 exec_lo, exec_lo, vcc_lo
	s_cbranch_execz .LBB14_164
; %bb.162:                              ;   in Loop: Header=BB14_4 Depth=1
	s_mov_b32 s12, 0
.LBB14_163:                             ;   Parent Loop BB14_4 Depth=1
                                        ; =>  This Inner Loop Header: Depth=2
	v_dual_mov_b32 v12, s0 :: v_dual_mov_b32 v13, s1
	s_sleep 1
	global_store_b64 v[6:7], v[14:15], off
	global_wb scope:SCOPE_SYS
	s_wait_storecnt 0x0
	s_wait_xcnt 0x0
	global_atomic_cmpswap_b64 v[12:13], v1, v[12:15], s[10:11] offset:24 th:TH_ATOMIC_RETURN scope:SCOPE_SYS
	s_wait_loadcnt 0x0
	v_cmp_eq_u64_e32 vcc_lo, v[12:13], v[14:15]
	s_wait_xcnt 0x0
	v_mov_b64_e32 v[14:15], v[12:13]
	s_or_b32 s12, vcc_lo, s12
	s_delay_alu instid0(SALU_CYCLE_1)
	s_and_not1_b32 exec_lo, exec_lo, s12
	s_cbranch_execnz .LBB14_163
.LBB14_164:                             ;   in Loop: Header=BB14_4 Depth=1
	s_or_b32 exec_lo, exec_lo, s14
	v_readfirstlane_b32 s0, v38
	v_mov_b64_e32 v[6:7], 0
	s_delay_alu instid0(VALU_DEP_2)
	v_cmp_eq_u32_e64 s0, s0, v38
	s_and_saveexec_b32 s1, s0
	s_cbranch_execz .LBB14_170
; %bb.165:                              ;   in Loop: Header=BB14_4 Depth=1
	global_load_b64 v[14:15], v1, s[10:11] offset:24 scope:SCOPE_SYS
	s_wait_loadcnt 0x0
	global_inv scope:SCOPE_SYS
	s_clause 0x1
	global_load_b64 v[6:7], v1, s[10:11] offset:40
	global_load_b64 v[12:13], v1, s[10:11]
	s_mov_b32 s12, exec_lo
	s_wait_loadcnt 0x1
	v_and_b32_e32 v6, v6, v14
	v_and_b32_e32 v7, v7, v15
	s_delay_alu instid0(VALU_DEP_1) | instskip(SKIP_1) | instid1(VALU_DEP_1)
	v_mul_u64_e32 v[6:7], 24, v[6:7]
	s_wait_loadcnt 0x0
	v_add_nc_u64_e32 v[6:7], v[12:13], v[6:7]
	global_load_b64 v[12:13], v[6:7], off scope:SCOPE_SYS
	s_wait_xcnt 0x0
	s_wait_loadcnt 0x0
	global_atomic_cmpswap_b64 v[6:7], v1, v[12:15], s[10:11] offset:24 th:TH_ATOMIC_RETURN scope:SCOPE_SYS
	s_wait_loadcnt 0x0
	global_inv scope:SCOPE_SYS
	s_wait_xcnt 0x0
	v_cmpx_ne_u64_e64 v[6:7], v[14:15]
	s_cbranch_execz .LBB14_169
; %bb.166:                              ;   in Loop: Header=BB14_4 Depth=1
	s_mov_b32 s13, 0
.LBB14_167:                             ;   Parent Loop BB14_4 Depth=1
                                        ; =>  This Inner Loop Header: Depth=2
	s_sleep 1
	s_clause 0x1
	global_load_b64 v[12:13], v1, s[10:11] offset:40
	global_load_b64 v[16:17], v1, s[10:11]
	v_mov_b64_e32 v[14:15], v[6:7]
	s_wait_loadcnt 0x1
	s_delay_alu instid0(VALU_DEP_1) | instskip(SKIP_1) | instid1(VALU_DEP_1)
	v_and_b32_e32 v0, v12, v14
	s_wait_loadcnt 0x0
	v_mad_nc_u64_u32 v[6:7], v0, 24, v[16:17]
	s_delay_alu instid0(VALU_DEP_3) | instskip(NEXT) | instid1(VALU_DEP_1)
	v_and_b32_e32 v0, v13, v15
	v_mad_u32 v7, v0, 24, v7
	global_load_b64 v[12:13], v[6:7], off scope:SCOPE_SYS
	s_wait_xcnt 0x0
	s_wait_loadcnt 0x0
	global_atomic_cmpswap_b64 v[6:7], v1, v[12:15], s[10:11] offset:24 th:TH_ATOMIC_RETURN scope:SCOPE_SYS
	s_wait_loadcnt 0x0
	global_inv scope:SCOPE_SYS
	v_cmp_eq_u64_e32 vcc_lo, v[6:7], v[14:15]
	s_or_b32 s13, vcc_lo, s13
	s_wait_xcnt 0x0
	s_and_not1_b32 exec_lo, exec_lo, s13
	s_cbranch_execnz .LBB14_167
; %bb.168:                              ;   in Loop: Header=BB14_4 Depth=1
	s_or_b32 exec_lo, exec_lo, s13
.LBB14_169:                             ;   in Loop: Header=BB14_4 Depth=1
	s_delay_alu instid0(SALU_CYCLE_1)
	s_or_b32 exec_lo, exec_lo, s12
.LBB14_170:                             ;   in Loop: Header=BB14_4 Depth=1
	s_delay_alu instid0(SALU_CYCLE_1)
	s_or_b32 exec_lo, exec_lo, s1
	s_clause 0x1
	global_load_b64 v[12:13], v1, s[10:11] offset:40
	global_load_b128 v[14:17], v1, s[10:11]
	v_readfirstlane_b32 s12, v6
	v_readfirstlane_b32 s13, v7
	s_mov_b32 s1, exec_lo
	s_wait_loadcnt 0x1
	v_and_b32_e32 v12, s12, v12
	v_and_b32_e32 v13, s13, v13
	s_delay_alu instid0(VALU_DEP_1) | instskip(SKIP_1) | instid1(VALU_DEP_1)
	v_mul_u64_e32 v[6:7], 24, v[12:13]
	s_wait_loadcnt 0x0
	v_add_nc_u64_e32 v[6:7], v[14:15], v[6:7]
	s_wait_xcnt 0x0
	s_and_saveexec_b32 s14, s0
	s_cbranch_execz .LBB14_172
; %bb.171:                              ;   in Loop: Header=BB14_4 Depth=1
	v_mov_b32_e32 v0, s1
	global_store_b128 v[6:7], v[0:3], off offset:8
.LBB14_172:                             ;   in Loop: Header=BB14_4 Depth=1
	s_wait_xcnt 0x0
	s_or_b32 exec_lo, exec_lo, s14
	v_lshlrev_b64_e32 v[18:19], 12, v[12:13]
	s_mov_b32 s18, s3
	s_mov_b32 s19, s3
	;; [unrolled: 1-line block ×4, first 2 shown]
	v_and_b32_e32 v12, 0xffff, v9
	v_and_or_b32 v10, 0xffffff1f, v10, 32
	v_add_nc_u64_e32 v[16:17], v[16:17], v[18:19]
	v_mov_b64_e32 v[20:21], s[18:19]
	v_mov_b64_e32 v[18:19], s[16:17]
	v_mov_b32_e32 v13, v1
	s_delay_alu instid0(VALU_DEP_4)
	v_readfirstlane_b32 s14, v16
	v_readfirstlane_b32 s15, v17
	s_clause 0x3
	global_store_b128 v32, v[10:13], s[14:15]
	global_store_b128 v32, v[18:21], s[14:15] offset:16
	global_store_b128 v32, v[18:21], s[14:15] offset:32
	;; [unrolled: 1-line block ×3, first 2 shown]
	s_wait_xcnt 0x0
	s_and_saveexec_b32 s1, s0
	s_cbranch_execz .LBB14_180
; %bb.173:                              ;   in Loop: Header=BB14_4 Depth=1
	s_clause 0x1
	global_load_b64 v[20:21], v1, s[10:11] offset:32 scope:SCOPE_SYS
	global_load_b64 v[10:11], v1, s[10:11] offset:40
	s_mov_b32 s14, exec_lo
	v_dual_mov_b32 v18, s12 :: v_dual_mov_b32 v19, s13
	s_wait_loadcnt 0x0
	v_and_b32_e32 v11, s13, v11
	v_and_b32_e32 v10, s12, v10
	s_delay_alu instid0(VALU_DEP_1) | instskip(NEXT) | instid1(VALU_DEP_1)
	v_mul_u64_e32 v[10:11], 24, v[10:11]
	v_add_nc_u64_e32 v[14:15], v[14:15], v[10:11]
	global_store_b64 v[14:15], v[20:21], off
	global_wb scope:SCOPE_SYS
	s_wait_storecnt 0x0
	s_wait_xcnt 0x0
	global_atomic_cmpswap_b64 v[12:13], v1, v[18:21], s[10:11] offset:32 th:TH_ATOMIC_RETURN scope:SCOPE_SYS
	s_wait_loadcnt 0x0
	s_wait_xcnt 0x0
	v_cmpx_ne_u64_e64 v[12:13], v[20:21]
	s_cbranch_execz .LBB14_176
; %bb.174:                              ;   in Loop: Header=BB14_4 Depth=1
	s_mov_b32 s15, 0
.LBB14_175:                             ;   Parent Loop BB14_4 Depth=1
                                        ; =>  This Inner Loop Header: Depth=2
	v_dual_mov_b32 v10, s12 :: v_dual_mov_b32 v11, s13
	s_sleep 1
	global_store_b64 v[14:15], v[12:13], off
	global_wb scope:SCOPE_SYS
	s_wait_storecnt 0x0
	s_wait_xcnt 0x0
	global_atomic_cmpswap_b64 v[10:11], v1, v[10:13], s[10:11] offset:32 th:TH_ATOMIC_RETURN scope:SCOPE_SYS
	s_wait_loadcnt 0x0
	v_cmp_eq_u64_e32 vcc_lo, v[10:11], v[12:13]
	s_wait_xcnt 0x0
	v_mov_b64_e32 v[12:13], v[10:11]
	s_or_b32 s15, vcc_lo, s15
	s_delay_alu instid0(SALU_CYCLE_1)
	s_and_not1_b32 exec_lo, exec_lo, s15
	s_cbranch_execnz .LBB14_175
.LBB14_176:                             ;   in Loop: Header=BB14_4 Depth=1
	s_or_b32 exec_lo, exec_lo, s14
	global_load_b64 v[10:11], v1, s[10:11] offset:16
	s_mov_b32 s15, exec_lo
	s_mov_b32 s14, exec_lo
	v_mbcnt_lo_u32_b32 v0, s15, 0
	s_wait_xcnt 0x0
	s_delay_alu instid0(VALU_DEP_1)
	v_cmpx_eq_u32_e32 0, v0
	s_cbranch_execz .LBB14_178
; %bb.177:                              ;   in Loop: Header=BB14_4 Depth=1
	s_bcnt1_i32_b32 s15, s15
	s_delay_alu instid0(SALU_CYCLE_1)
	v_mov_b32_e32 v0, s15
	global_wb scope:SCOPE_SYS
	s_wait_loadcnt 0x0
	s_wait_storecnt 0x0
	global_atomic_add_u64 v[10:11], v[0:1], off offset:8 scope:SCOPE_SYS
.LBB14_178:                             ;   in Loop: Header=BB14_4 Depth=1
	s_wait_xcnt 0x0
	s_or_b32 exec_lo, exec_lo, s14
	s_wait_loadcnt 0x0
	global_load_b64 v[12:13], v[10:11], off offset:16
	s_wait_loadcnt 0x0
	v_cmp_eq_u64_e32 vcc_lo, 0, v[12:13]
	s_cbranch_vccnz .LBB14_180
; %bb.179:                              ;   in Loop: Header=BB14_4 Depth=1
	global_load_b32 v0, v[10:11], off offset:24
	s_wait_loadcnt 0x0
	v_readfirstlane_b32 s14, v0
	global_wb scope:SCOPE_SYS
	s_wait_storecnt 0x0
	s_wait_xcnt 0x0
	global_store_b64 v[12:13], v[0:1], off scope:SCOPE_SYS
	s_and_b32 m0, s14, 0xffffff
	s_sendmsg sendmsg(MSG_INTERRUPT)
.LBB14_180:                             ;   in Loop: Header=BB14_4 Depth=1
	s_wait_xcnt 0x0
	s_or_b32 exec_lo, exec_lo, s1
	v_mov_b32_e32 v33, v1
	s_delay_alu instid0(VALU_DEP_1)
	v_add_nc_u64_e32 v[10:11], v[16:17], v[32:33]
	s_branch .LBB14_184
.LBB14_181:                             ;   in Loop: Header=BB14_184 Depth=2
	s_wait_xcnt 0x0
	s_or_b32 exec_lo, exec_lo, s1
	s_delay_alu instid0(VALU_DEP_1)
	v_readfirstlane_b32 s1, v0
	s_cmp_eq_u32 s1, 0
	s_cbranch_scc1 .LBB14_183
; %bb.182:                              ;   in Loop: Header=BB14_184 Depth=2
	s_sleep 1
	s_cbranch_execnz .LBB14_184
	s_branch .LBB14_186
.LBB14_183:                             ;   in Loop: Header=BB14_4 Depth=1
	s_branch .LBB14_186
.LBB14_184:                             ;   Parent Loop BB14_4 Depth=1
                                        ; =>  This Inner Loop Header: Depth=2
	v_mov_b32_e32 v0, 1
	s_and_saveexec_b32 s1, s0
	s_cbranch_execz .LBB14_181
; %bb.185:                              ;   in Loop: Header=BB14_184 Depth=2
	global_load_b32 v0, v[6:7], off offset:20 scope:SCOPE_SYS
	s_wait_loadcnt 0x0
	global_inv scope:SCOPE_SYS
	v_and_b32_e32 v0, 1, v0
	s_branch .LBB14_181
.LBB14_186:                             ;   in Loop: Header=BB14_4 Depth=1
	global_load_b64 v[6:7], v[10:11], off
	s_wait_xcnt 0x0
	s_and_saveexec_b32 s14, s0
	s_cbranch_execz .LBB14_190
; %bb.187:                              ;   in Loop: Header=BB14_4 Depth=1
	s_clause 0x2
	global_load_b64 v[10:11], v1, s[10:11] offset:40
	global_load_b64 v[18:19], v1, s[10:11] offset:24 scope:SCOPE_SYS
	global_load_b64 v[12:13], v1, s[10:11]
	s_wait_loadcnt 0x2
	v_readfirstlane_b32 s16, v10
	v_readfirstlane_b32 s17, v11
	s_add_nc_u64 s[0:1], s[16:17], 1
	s_delay_alu instid0(SALU_CYCLE_1) | instskip(NEXT) | instid1(SALU_CYCLE_1)
	s_add_nc_u64 s[12:13], s[0:1], s[12:13]
	s_cmp_eq_u64 s[12:13], 0
	s_cselect_b32 s1, s1, s13
	s_cselect_b32 s0, s0, s12
	s_delay_alu instid0(SALU_CYCLE_1) | instskip(SKIP_1) | instid1(SALU_CYCLE_1)
	v_dual_mov_b32 v17, s1 :: v_dual_mov_b32 v16, s0
	s_and_b64 s[12:13], s[0:1], s[16:17]
	s_mul_u64 s[12:13], s[12:13], 24
	s_wait_loadcnt 0x0
	v_add_nc_u64_e32 v[14:15], s[12:13], v[12:13]
	global_store_b64 v[14:15], v[18:19], off
	global_wb scope:SCOPE_SYS
	s_wait_storecnt 0x0
	s_wait_xcnt 0x0
	global_atomic_cmpswap_b64 v[12:13], v1, v[16:19], s[10:11] offset:24 th:TH_ATOMIC_RETURN scope:SCOPE_SYS
	s_wait_loadcnt 0x0
	v_cmp_ne_u64_e32 vcc_lo, v[12:13], v[18:19]
	s_wait_xcnt 0x0
	s_and_b32 exec_lo, exec_lo, vcc_lo
	s_cbranch_execz .LBB14_190
; %bb.188:                              ;   in Loop: Header=BB14_4 Depth=1
	s_mov_b32 s12, 0
.LBB14_189:                             ;   Parent Loop BB14_4 Depth=1
                                        ; =>  This Inner Loop Header: Depth=2
	v_dual_mov_b32 v10, s0 :: v_dual_mov_b32 v11, s1
	s_sleep 1
	global_store_b64 v[14:15], v[12:13], off
	global_wb scope:SCOPE_SYS
	s_wait_storecnt 0x0
	s_wait_xcnt 0x0
	global_atomic_cmpswap_b64 v[10:11], v1, v[10:13], s[10:11] offset:24 th:TH_ATOMIC_RETURN scope:SCOPE_SYS
	s_wait_loadcnt 0x0
	v_cmp_eq_u64_e32 vcc_lo, v[10:11], v[12:13]
	s_wait_xcnt 0x0
	v_mov_b64_e32 v[12:13], v[10:11]
	s_or_b32 s12, vcc_lo, s12
	s_delay_alu instid0(SALU_CYCLE_1)
	s_and_not1_b32 exec_lo, exec_lo, s12
	s_cbranch_execnz .LBB14_189
.LBB14_190:                             ;   in Loop: Header=BB14_4 Depth=1
	s_or_b32 exec_lo, exec_lo, s14
	v_readfirstlane_b32 s0, v38
	v_mov_b64_e32 v[14:15], 0
	s_delay_alu instid0(VALU_DEP_2)
	v_cmp_eq_u32_e64 s0, s0, v38
	s_and_saveexec_b32 s1, s0
	s_cbranch_execz .LBB14_196
; %bb.191:                              ;   in Loop: Header=BB14_4 Depth=1
	global_load_b64 v[12:13], v1, s[10:11] offset:24 scope:SCOPE_SYS
	s_wait_loadcnt 0x0
	global_inv scope:SCOPE_SYS
	s_clause 0x1
	global_load_b64 v[10:11], v1, s[10:11] offset:40
	global_load_b64 v[14:15], v1, s[10:11]
	s_mov_b32 s12, exec_lo
	s_wait_loadcnt 0x1
	v_and_b32_e32 v10, v10, v12
	v_and_b32_e32 v11, v11, v13
	s_delay_alu instid0(VALU_DEP_1) | instskip(SKIP_1) | instid1(VALU_DEP_1)
	v_mul_u64_e32 v[10:11], 24, v[10:11]
	s_wait_loadcnt 0x0
	v_add_nc_u64_e32 v[10:11], v[14:15], v[10:11]
	global_load_b64 v[10:11], v[10:11], off scope:SCOPE_SYS
	s_wait_xcnt 0x0
	s_wait_loadcnt 0x0
	global_atomic_cmpswap_b64 v[14:15], v1, v[10:13], s[10:11] offset:24 th:TH_ATOMIC_RETURN scope:SCOPE_SYS
	s_wait_loadcnt 0x0
	global_inv scope:SCOPE_SYS
	s_wait_xcnt 0x0
	v_cmpx_ne_u64_e64 v[14:15], v[12:13]
	s_cbranch_execz .LBB14_195
; %bb.192:                              ;   in Loop: Header=BB14_4 Depth=1
	s_mov_b32 s13, 0
.LBB14_193:                             ;   Parent Loop BB14_4 Depth=1
                                        ; =>  This Inner Loop Header: Depth=2
	s_sleep 1
	s_clause 0x1
	global_load_b64 v[10:11], v1, s[10:11] offset:40
	global_load_b64 v[16:17], v1, s[10:11]
	v_mov_b64_e32 v[12:13], v[14:15]
	s_wait_loadcnt 0x1
	s_delay_alu instid0(VALU_DEP_1) | instskip(SKIP_1) | instid1(VALU_DEP_1)
	v_and_b32_e32 v0, v10, v12
	s_wait_loadcnt 0x0
	v_mad_nc_u64_u32 v[14:15], v0, 24, v[16:17]
	s_delay_alu instid0(VALU_DEP_3) | instskip(NEXT) | instid1(VALU_DEP_1)
	v_and_b32_e32 v0, v11, v13
	v_mad_u32 v15, v0, 24, v15
	global_load_b64 v[10:11], v[14:15], off scope:SCOPE_SYS
	s_wait_xcnt 0x0
	s_wait_loadcnt 0x0
	global_atomic_cmpswap_b64 v[14:15], v1, v[10:13], s[10:11] offset:24 th:TH_ATOMIC_RETURN scope:SCOPE_SYS
	s_wait_loadcnt 0x0
	global_inv scope:SCOPE_SYS
	v_cmp_eq_u64_e32 vcc_lo, v[14:15], v[12:13]
	s_or_b32 s13, vcc_lo, s13
	s_wait_xcnt 0x0
	s_and_not1_b32 exec_lo, exec_lo, s13
	s_cbranch_execnz .LBB14_193
; %bb.194:                              ;   in Loop: Header=BB14_4 Depth=1
	s_or_b32 exec_lo, exec_lo, s13
.LBB14_195:                             ;   in Loop: Header=BB14_4 Depth=1
	s_delay_alu instid0(SALU_CYCLE_1)
	s_or_b32 exec_lo, exec_lo, s12
.LBB14_196:                             ;   in Loop: Header=BB14_4 Depth=1
	s_delay_alu instid0(SALU_CYCLE_1)
	s_or_b32 exec_lo, exec_lo, s1
	s_clause 0x1
	global_load_b64 v[16:17], v1, s[10:11] offset:40
	global_load_b128 v[10:13], v1, s[10:11]
	v_readfirstlane_b32 s12, v14
	v_readfirstlane_b32 s13, v15
	s_mov_b32 s1, exec_lo
	s_wait_loadcnt 0x1
	v_and_b32_e32 v16, s12, v16
	v_and_b32_e32 v17, s13, v17
	s_delay_alu instid0(VALU_DEP_1) | instskip(SKIP_1) | instid1(VALU_DEP_1)
	v_mul_u64_e32 v[14:15], 24, v[16:17]
	s_wait_loadcnt 0x0
	v_add_nc_u64_e32 v[14:15], v[10:11], v[14:15]
	s_wait_xcnt 0x0
	s_and_saveexec_b32 s14, s0
	s_cbranch_execz .LBB14_198
; %bb.197:                              ;   in Loop: Header=BB14_4 Depth=1
	v_mov_b32_e32 v0, s1
	global_store_b128 v[14:15], v[0:3], off offset:8
.LBB14_198:                             ;   in Loop: Header=BB14_4 Depth=1
	s_wait_xcnt 0x0
	s_or_b32 exec_lo, exec_lo, s14
	v_lshlrev_b64_e32 v[16:17], 12, v[16:17]
	s_mov_b32 s16, s3
	s_mov_b32 s17, s3
	;; [unrolled: 1-line block ×4, first 2 shown]
	v_and_or_b32 v6, 0xffffff1d, v6, 34
	v_mov_b32_e32 v9, v1
	v_add_nc_u64_e32 v[12:13], v[12:13], v[16:17]
	v_mov_b64_e32 v[16:17], s[16:17]
	v_mov_b64_e32 v[18:19], s[18:19]
	s_delay_alu instid0(VALU_DEP_3) | instskip(NEXT) | instid1(VALU_DEP_4)
	v_readfirstlane_b32 s14, v12
	v_readfirstlane_b32 s15, v13
	s_clause 0x3
	global_store_b128 v32, v[6:9], s[14:15]
	global_store_b128 v32, v[16:19], s[14:15] offset:16
	global_store_b128 v32, v[16:19], s[14:15] offset:32
	;; [unrolled: 1-line block ×3, first 2 shown]
	s_wait_xcnt 0x0
	s_and_saveexec_b32 s1, s0
	s_cbranch_execz .LBB14_206
; %bb.199:                              ;   in Loop: Header=BB14_4 Depth=1
	s_clause 0x1
	global_load_b64 v[18:19], v1, s[10:11] offset:32 scope:SCOPE_SYS
	global_load_b64 v[6:7], v1, s[10:11] offset:40
	s_mov_b32 s14, exec_lo
	v_dual_mov_b32 v16, s12 :: v_dual_mov_b32 v17, s13
	s_wait_loadcnt 0x0
	v_and_b32_e32 v7, s13, v7
	v_and_b32_e32 v6, s12, v6
	s_delay_alu instid0(VALU_DEP_1) | instskip(NEXT) | instid1(VALU_DEP_1)
	v_mul_u64_e32 v[6:7], 24, v[6:7]
	v_add_nc_u64_e32 v[10:11], v[10:11], v[6:7]
	global_store_b64 v[10:11], v[18:19], off
	global_wb scope:SCOPE_SYS
	s_wait_storecnt 0x0
	s_wait_xcnt 0x0
	global_atomic_cmpswap_b64 v[8:9], v1, v[16:19], s[10:11] offset:32 th:TH_ATOMIC_RETURN scope:SCOPE_SYS
	s_wait_loadcnt 0x0
	v_cmpx_ne_u64_e64 v[8:9], v[18:19]
	s_cbranch_execz .LBB14_202
; %bb.200:                              ;   in Loop: Header=BB14_4 Depth=1
	s_mov_b32 s15, 0
.LBB14_201:                             ;   Parent Loop BB14_4 Depth=1
                                        ; =>  This Inner Loop Header: Depth=2
	v_dual_mov_b32 v6, s12 :: v_dual_mov_b32 v7, s13
	s_sleep 1
	global_store_b64 v[10:11], v[8:9], off
	global_wb scope:SCOPE_SYS
	s_wait_storecnt 0x0
	s_wait_xcnt 0x0
	global_atomic_cmpswap_b64 v[6:7], v1, v[6:9], s[10:11] offset:32 th:TH_ATOMIC_RETURN scope:SCOPE_SYS
	s_wait_loadcnt 0x0
	v_cmp_eq_u64_e32 vcc_lo, v[6:7], v[8:9]
	v_mov_b64_e32 v[8:9], v[6:7]
	s_or_b32 s15, vcc_lo, s15
	s_delay_alu instid0(SALU_CYCLE_1)
	s_and_not1_b32 exec_lo, exec_lo, s15
	s_cbranch_execnz .LBB14_201
.LBB14_202:                             ;   in Loop: Header=BB14_4 Depth=1
	s_or_b32 exec_lo, exec_lo, s14
	global_load_b64 v[6:7], v1, s[10:11] offset:16
	s_mov_b32 s15, exec_lo
	s_mov_b32 s14, exec_lo
	v_mbcnt_lo_u32_b32 v0, s15, 0
	s_wait_xcnt 0x0
	s_delay_alu instid0(VALU_DEP_1)
	v_cmpx_eq_u32_e32 0, v0
	s_cbranch_execz .LBB14_204
; %bb.203:                              ;   in Loop: Header=BB14_4 Depth=1
	s_bcnt1_i32_b32 s15, s15
	s_delay_alu instid0(SALU_CYCLE_1)
	v_mov_b32_e32 v0, s15
	global_wb scope:SCOPE_SYS
	s_wait_loadcnt 0x0
	s_wait_storecnt 0x0
	global_atomic_add_u64 v[6:7], v[0:1], off offset:8 scope:SCOPE_SYS
.LBB14_204:                             ;   in Loop: Header=BB14_4 Depth=1
	s_wait_xcnt 0x0
	s_or_b32 exec_lo, exec_lo, s14
	s_wait_loadcnt 0x0
	global_load_b64 v[8:9], v[6:7], off offset:16
	s_wait_loadcnt 0x0
	v_cmp_eq_u64_e32 vcc_lo, 0, v[8:9]
	s_cbranch_vccnz .LBB14_206
; %bb.205:                              ;   in Loop: Header=BB14_4 Depth=1
	global_load_b32 v0, v[6:7], off offset:24
	s_wait_loadcnt 0x0
	v_readfirstlane_b32 s14, v0
	global_wb scope:SCOPE_SYS
	s_wait_storecnt 0x0
	s_wait_xcnt 0x0
	global_store_b64 v[8:9], v[0:1], off scope:SCOPE_SYS
	s_and_b32 m0, s14, 0xffffff
	s_sendmsg sendmsg(MSG_INTERRUPT)
.LBB14_206:                             ;   in Loop: Header=BB14_4 Depth=1
	s_wait_xcnt 0x0
	s_or_b32 exec_lo, exec_lo, s1
	s_branch .LBB14_210
.LBB14_207:                             ;   in Loop: Header=BB14_210 Depth=2
	s_wait_xcnt 0x0
	s_or_b32 exec_lo, exec_lo, s1
	s_delay_alu instid0(VALU_DEP_1)
	v_readfirstlane_b32 s1, v0
	s_cmp_eq_u32 s1, 0
	s_cbranch_scc1 .LBB14_209
; %bb.208:                              ;   in Loop: Header=BB14_210 Depth=2
	s_sleep 1
	s_cbranch_execnz .LBB14_210
	s_branch .LBB14_212
.LBB14_209:                             ;   in Loop: Header=BB14_4 Depth=1
	s_branch .LBB14_212
.LBB14_210:                             ;   Parent Loop BB14_4 Depth=1
                                        ; =>  This Inner Loop Header: Depth=2
	v_mov_b32_e32 v0, 1
	s_and_saveexec_b32 s1, s0
	s_cbranch_execz .LBB14_207
; %bb.211:                              ;   in Loop: Header=BB14_210 Depth=2
	global_load_b32 v0, v[14:15], off offset:20 scope:SCOPE_SYS
	s_wait_loadcnt 0x0
	global_inv scope:SCOPE_SYS
	v_and_b32_e32 v0, 1, v0
	s_branch .LBB14_207
.LBB14_212:                             ;   in Loop: Header=BB14_4 Depth=1
	s_and_saveexec_b32 s14, s0
	s_cbranch_execz .LBB14_2
; %bb.213:                              ;   in Loop: Header=BB14_4 Depth=1
	s_clause 0x2
	global_load_b64 v[6:7], v1, s[10:11] offset:40
	global_load_b64 v[14:15], v1, s[10:11] offset:24 scope:SCOPE_SYS
	global_load_b64 v[8:9], v1, s[10:11]
	s_wait_loadcnt 0x2
	v_readfirstlane_b32 s16, v6
	v_readfirstlane_b32 s17, v7
	s_add_nc_u64 s[0:1], s[16:17], 1
	s_delay_alu instid0(SALU_CYCLE_1) | instskip(NEXT) | instid1(SALU_CYCLE_1)
	s_add_nc_u64 s[12:13], s[0:1], s[12:13]
	s_cmp_eq_u64 s[12:13], 0
	s_cselect_b32 s1, s1, s13
	s_cselect_b32 s0, s0, s12
	s_delay_alu instid0(SALU_CYCLE_1) | instskip(SKIP_1) | instid1(SALU_CYCLE_1)
	v_dual_mov_b32 v13, s1 :: v_dual_mov_b32 v12, s0
	s_and_b64 s[12:13], s[0:1], s[16:17]
	s_mul_u64 s[12:13], s[12:13], 24
	s_wait_loadcnt 0x0
	v_add_nc_u64_e32 v[10:11], s[12:13], v[8:9]
	global_store_b64 v[10:11], v[14:15], off
	global_wb scope:SCOPE_SYS
	s_wait_storecnt 0x0
	s_wait_xcnt 0x0
	global_atomic_cmpswap_b64 v[8:9], v1, v[12:15], s[10:11] offset:24 th:TH_ATOMIC_RETURN scope:SCOPE_SYS
	s_wait_loadcnt 0x0
	v_cmp_ne_u64_e32 vcc_lo, v[8:9], v[14:15]
	s_and_b32 exec_lo, exec_lo, vcc_lo
	s_cbranch_execz .LBB14_2
; %bb.214:                              ;   in Loop: Header=BB14_4 Depth=1
	s_mov_b32 s12, 0
.LBB14_215:                             ;   Parent Loop BB14_4 Depth=1
                                        ; =>  This Inner Loop Header: Depth=2
	v_dual_mov_b32 v6, s0 :: v_dual_mov_b32 v7, s1
	s_sleep 1
	global_store_b64 v[10:11], v[8:9], off
	global_wb scope:SCOPE_SYS
	s_wait_storecnt 0x0
	s_wait_xcnt 0x0
	global_atomic_cmpswap_b64 v[6:7], v1, v[6:9], s[10:11] offset:24 th:TH_ATOMIC_RETURN scope:SCOPE_SYS
	s_wait_loadcnt 0x0
	v_cmp_eq_u64_e32 vcc_lo, v[6:7], v[8:9]
	v_mov_b64_e32 v[8:9], v[6:7]
	s_or_b32 s12, vcc_lo, s12
	s_delay_alu instid0(SALU_CYCLE_1)
	s_and_not1_b32 exec_lo, exec_lo, s12
	s_cbranch_execnz .LBB14_215
	s_branch .LBB14_2
.LBB14_216:
	s_endpgm
	.section	.rodata,"a",@progbits
	.p2align	6, 0x0
	.amdhsa_kernel _Z5printiPN2rw3CutEPi
		.amdhsa_group_segment_fixed_size 0
		.amdhsa_private_segment_fixed_size 0
		.amdhsa_kernarg_size 280
		.amdhsa_user_sgpr_count 2
		.amdhsa_user_sgpr_dispatch_ptr 0
		.amdhsa_user_sgpr_queue_ptr 0
		.amdhsa_user_sgpr_kernarg_segment_ptr 1
		.amdhsa_user_sgpr_dispatch_id 0
		.amdhsa_user_sgpr_kernarg_preload_length 0
		.amdhsa_user_sgpr_kernarg_preload_offset 0
		.amdhsa_user_sgpr_private_segment_size 0
		.amdhsa_wavefront_size32 1
		.amdhsa_uses_dynamic_stack 0
		.amdhsa_enable_private_segment 0
		.amdhsa_system_sgpr_workgroup_id_x 1
		.amdhsa_system_sgpr_workgroup_id_y 0
		.amdhsa_system_sgpr_workgroup_id_z 0
		.amdhsa_system_sgpr_workgroup_info 0
		.amdhsa_system_vgpr_workitem_id 0
		.amdhsa_next_free_vgpr 39
		.amdhsa_next_free_sgpr 28
		.amdhsa_named_barrier_count 0
		.amdhsa_reserve_vcc 1
		.amdhsa_float_round_mode_32 0
		.amdhsa_float_round_mode_16_64 0
		.amdhsa_float_denorm_mode_32 3
		.amdhsa_float_denorm_mode_16_64 3
		.amdhsa_fp16_overflow 0
		.amdhsa_memory_ordered 1
		.amdhsa_forward_progress 1
		.amdhsa_inst_pref_size 76
		.amdhsa_round_robin_scheduling 0
		.amdhsa_exception_fp_ieee_invalid_op 0
		.amdhsa_exception_fp_denorm_src 0
		.amdhsa_exception_fp_ieee_div_zero 0
		.amdhsa_exception_fp_ieee_overflow 0
		.amdhsa_exception_fp_ieee_underflow 0
		.amdhsa_exception_fp_ieee_inexact 0
		.amdhsa_exception_int_div_zero 0
	.end_amdhsa_kernel
	.text
.Lfunc_end14:
	.size	_Z5printiPN2rw3CutEPi, .Lfunc_end14-_Z5printiPN2rw3CutEPi
                                        ; -- End function
	.set _Z5printiPN2rw3CutEPi.num_vgpr, 39
	.set _Z5printiPN2rw3CutEPi.num_agpr, 0
	.set _Z5printiPN2rw3CutEPi.numbered_sgpr, 28
	.set _Z5printiPN2rw3CutEPi.num_named_barrier, 0
	.set _Z5printiPN2rw3CutEPi.private_seg_size, 0
	.set _Z5printiPN2rw3CutEPi.uses_vcc, 1
	.set _Z5printiPN2rw3CutEPi.uses_flat_scratch, 0
	.set _Z5printiPN2rw3CutEPi.has_dyn_sized_stack, 0
	.set _Z5printiPN2rw3CutEPi.has_recursion, 0
	.set _Z5printiPN2rw3CutEPi.has_indirect_call, 0
	.section	.AMDGPU.csdata,"",@progbits
; Kernel info:
; codeLenInByte = 9652
; TotalNumSgprs: 30
; NumVgprs: 39
; ScratchSize: 0
; MemoryBound: 0
; FloatMode: 240
; IeeeMode: 1
; LDSByteSize: 0 bytes/workgroup (compile time only)
; SGPRBlocks: 0
; VGPRBlocks: 2
; NumSGPRsForWavesPerEU: 30
; NumVGPRsForWavesPerEU: 39
; NamedBarCnt: 0
; Occupancy: 16
; WaveLimiterHint : 1
; COMPUTE_PGM_RSRC2:SCRATCH_EN: 0
; COMPUTE_PGM_RSRC2:USER_SGPR: 2
; COMPUTE_PGM_RSRC2:TRAP_HANDLER: 0
; COMPUTE_PGM_RSRC2:TGID_X_EN: 1
; COMPUTE_PGM_RSRC2:TGID_Y_EN: 0
; COMPUTE_PGM_RSRC2:TGID_Z_EN: 0
; COMPUTE_PGM_RSRC2:TIDIG_COMP_CNT: 0
	.text
	.protected	_Z16EvaluateNodeWaveiPiS_S_S_S_S_PN2rw3CutES2_S_PNS0_7LibraryEPNS0_9TableNodeEPKii ; -- Begin function _Z16EvaluateNodeWaveiPiS_S_S_S_S_PN2rw3CutES2_S_PNS0_7LibraryEPNS0_9TableNodeEPKii
	.globl	_Z16EvaluateNodeWaveiPiS_S_S_S_S_PN2rw3CutES2_S_PNS0_7LibraryEPNS0_9TableNodeEPKii
	.p2align	8
	.type	_Z16EvaluateNodeWaveiPiS_S_S_S_S_PN2rw3CutES2_S_PNS0_7LibraryEPNS0_9TableNodeEPKii,@function
_Z16EvaluateNodeWaveiPiS_S_S_S_S_PN2rw3CutES2_S_PNS0_7LibraryEPNS0_9TableNodeEPKii: ; @_Z16EvaluateNodeWaveiPiS_S_S_S_S_PN2rw3CutES2_S_PNS0_7LibraryEPNS0_9TableNodeEPKii
; %bb.0:
	s_mov_b64 s[38:39], s[0:1]
	s_load_b32 s0, s[0:1], 0x7c
	s_wait_xcnt 0x0
	s_load_b32 s1, s[38:39], 0x0
	s_bfe_u32 s2, ttmp6, 0x4000c
	s_and_b32 s3, ttmp6, 15
	s_add_co_i32 s2, s2, 1
	s_getreg_b32 s4, hwreg(HW_REG_IB_STS2, 6, 4)
	s_mul_i32 s2, ttmp9, s2
	s_movk_i32 s32, 0x200
	s_add_co_i32 s3, s3, s2
	s_wait_kmcnt 0x0
	s_and_b32 s0, s0, 0xffff
	s_cmp_eq_u32 s4, 0
	s_cselect_b32 s2, ttmp9, s3
	s_delay_alu instid0(SALU_CYCLE_1) | instskip(SKIP_1) | instid1(VALU_DEP_1)
	v_mad_u32 v46, s2, s0, v0
	s_mov_b32 s0, exec_lo
	v_cmpx_gt_u32_e64 s1, v46
	s_cbranch_execz .LBB15_76
; %bb.1:
	s_clause 0x1
	s_load_b256 s[48:55], s[38:39], 0x48
	s_load_b512 s[0:15], s[38:39], 0x8
                                        ; implicit-def: $vgpr94 : SGPR spill to VGPR lane
	v_ashrrev_i32_e32 v47, 31, v46
	s_wait_kmcnt 0x0
	global_load_b32 v0, v46, s[54:55] offset:4 scale_offset
	v_writelane_b32 v94, s0, 0
	v_writelane_b32 v94, s1, 1
	;; [unrolled: 1-line block ×16, first 2 shown]
	s_mov_b32 s0, exec_lo
	s_wait_loadcnt 0x0
	v_cmpx_ne_u32_e32 0, v0
	s_xor_b32 s23, exec_lo, s0
	s_cbranch_execz .LBB15_74
; %bb.2:
	v_mbcnt_lo_u32_b32 v1, -1, 0
	v_mov_b32_e32 v0, 0
	v_writelane_b32 v94, s23, 16
	v_dual_add_nc_u32 v40, 1, v46 :: v_dual_mov_b32 v76, 0
	s_delay_alu instid0(VALU_DEP_4)
	v_lshlrev_b32_e32 v1, 20, v1
	s_add_nc_u64 s[0:1], s[50:51], 0xc0870
	v_mov_b64_e32 v[90:91], -1
	v_writelane_b32 v94, s0, 17
	v_mov_b32_e32 v58, 0x5f5e0ff
	v_add_nc_u64_e32 v[60:61], src_flat_scratch_base_lo, v[0:1]
	v_dual_mov_b32 v0, 0xd8 :: v_dual_mov_b32 v57, -1
	v_writelane_b32 v94, s1, 18
	s_get_pc_i64 s[0:1]
	s_add_nc_u64 s[0:1], s[0:1], P@rel64+4
	v_lshlrev_b32_e32 v43, 3, v40
	v_add_nc_u64_e32 v[62:63], src_flat_scratch_base_lo, v[0:1]
	v_mov_b32_e32 v0, 0xe0
	v_writelane_b32 v94, s0, 19
	v_mov_b32_e32 v56, -1
	s_mov_b32 s55, 0
	s_mov_b32 s64, -1
	v_add_nc_u64_e32 v[78:79], src_flat_scratch_base_lo, v[0:1]
	v_mov_b32_e32 v0, 0x100
	s_mov_b32 s87, 0
	s_mov_b32 s96, 0
	s_get_pc_i64 s[84:85]
	s_add_nc_u64 s[84:85], s[84:85], _Z8CalcMFFCiPN2rw3CutEPiS2_S2_S2_S2_S2_i@rel64+4
	v_writelane_b32 v94, s1, 20
	v_add_nc_u64_e32 v[88:89], src_flat_scratch_base_lo, v[0:1]
                                        ; implicit-def: $sgpr97
                                        ; implicit-def: $sgpr98
                                        ; implicit-def: $sgpr99
                                        ; implicit-def: $sgpr100
                                        ; implicit-def: $vgpr44
	s_branch .LBB15_4
.LBB15_3:                               ;   in Loop: Header=BB15_4 Depth=1
	s_or_b32 exec_lo, exec_lo, s0
	s_delay_alu instid0(SALU_CYCLE_1) | instskip(NEXT) | instid1(SALU_CYCLE_1)
	s_and_b32 s0, exec_lo, s2
	s_or_b32 s87, s0, s87
	s_and_not1_b32 s0, s98, exec_lo
	s_and_b32 s1, s100, exec_lo
	s_and_not1_b32 s2, s97, exec_lo
	s_and_b32 s3, s99, exec_lo
	s_or_b32 s98, s0, s1
	s_or_b32 s97, s2, s3
	s_and_not1_b32 exec_lo, exec_lo, s87
	s_cbranch_execz .LBB15_69
.LBB15_4:                               ; =>This Loop Header: Depth=1
                                        ;     Child Loop BB15_13 Depth 2
                                        ;       Child Loop BB15_26 Depth 3
                                        ;       Child Loop BB15_39 Depth 3
                                        ;     Child Loop BB15_51 Depth 2
	s_load_b512 s[0:15], s[38:39], 0x8
	v_or_b32_e32 v0, s96, v43
	s_wait_kmcnt 0x0
	s_mov_b32 s1, -1
	s_mov_b32 s101, exec_lo
                                        ; implicit-def: $sgpr4
                                        ; implicit-def: $sgpr0
	s_delay_alu instid0(VALU_DEP_1)
	v_mad_nc_i64_i32 v[92:93], v0, 28, s[12:13]
	global_load_u8 v0, v[92:93], off offset:24
	s_wait_loadcnt 0x0
	s_wait_xcnt 0x0
	v_cmpx_ne_u16_e32 0, v0
	s_cbranch_execz .LBB15_67
; %bb.5:                                ;   in Loop: Header=BB15_4 Depth=1
	global_load_b32 v77, v[92:93], off offset:20
	s_mov_b32 s103, exec_lo
                                        ; implicit-def: $sgpr4
                                        ; implicit-def: $sgpr0
	s_wait_loadcnt 0x0
	v_bfe_u32 v59, v77, 27, 4
	s_delay_alu instid0(VALU_DEP_1)
	v_cmp_gt_u32_e64 s102, 3, v59
	s_wait_xcnt 0x0
	v_cmpx_lt_u32_e32 2, v59
	s_cbranch_execz .LBB15_66
; %bb.6:                                ;   in Loop: Header=BB15_4 Depth=1
	s_mov_b32 s0, exec_lo
	v_cmpx_eq_u32_e32 3, v59
	s_cbranch_execz .LBB15_8
; %bb.7:                                ;   in Loop: Header=BB15_4 Depth=1
	s_mov_b32 s1, 0x87ffffff
	s_delay_alu instid0(SALU_CYCLE_1)
	v_and_or_b32 v77, v77, s1, 0x20000000
	global_store_b64 v[92:93], v[76:77], off offset:16
.LBB15_8:                               ;   in Loop: Header=BB15_4 Depth=1
	s_wait_xcnt 0x0
	s_or_b32 exec_lo, exec_lo, s0
	s_load_b512 s[0:15], s[38:39], 0x8
	v_dual_mov_b32 v0, v40 :: v_dual_mov_b32 v1, v92
	v_dual_mov_b32 v2, v93 :: v_dual_mov_b32 v8, v63
	;; [unrolled: 1-line block ×5, first 2 shown]
	scratch_store_b32 off, v76, off offset:216
	s_wait_kmcnt 0x0
	v_dual_mov_b32 v7, v62 :: v_dual_mov_b32 v6, s5
	v_dual_mov_b32 v3, s2 :: v_dual_mov_b32 v4, s3
	v_mov_b32_e32 v5, s4
	s_swap_pc_i64 s[30:31], s[84:85]
	v_and_b32_e32 v2, 0xffff, v77
	v_mov_b32_e32 v41, v0
	s_load_b512 s[0:15], s[38:39], 0x8
	s_mov_b32 s65, s64
	s_mov_b32 s66, s64
	s_clause 0x1
	global_load_b32 v0, v2, s[50:51] offset:262144 scale_offset
	global_load_b32 v72, v2, s[50:51] offset:524672 scale_offset
	s_mov_b32 s67, s64
	s_wait_kmcnt 0x0
	s_mov_b32 s4, -1
	s_mov_b32 s2, -1
	s_mov_b32 s5, exec_lo
	s_wait_loadcnt 0x1
	global_load_b128 v[4:7], v0, s[50:51] offset:524288 scale_offset
	s_wait_loadcnt 0x1
	global_load_b32 v12, v72, s[50:51] offset:786816 scale_offset
	s_wait_loadcnt 0x1
	v_dual_mov_b32 v10, v7 :: v_dual_ashrrev_i32 v73, 31, v72
	s_wait_xcnt 0x1
	v_dual_mov_b32 v0, v4 :: v_dual_ashrrev_i32 v1, 31, v4
	v_dual_mov_b32 v8, v5 :: v_dual_ashrrev_i32 v9, 31, v5
	;; [unrolled: 1-line block ×3, first 2 shown]
	v_ashrrev_i32_e32 v11, 31, v7
	s_delay_alu instid0(VALU_DEP_4) | instskip(NEXT) | instid1(VALU_DEP_4)
	v_lshl_add_u64 v[0:1], v[0:1], 2, v[92:93]
	v_lshl_add_u64 v[8:9], v[8:9], 2, v[92:93]
	s_delay_alu instid0(VALU_DEP_4) | instskip(NEXT) | instid1(VALU_DEP_4)
	v_lshl_add_u64 v[14:15], v[4:5], 2, v[92:93]
	v_lshl_add_u64 v[10:11], v[10:11], 2, v[92:93]
	s_clause 0x3
	global_load_b32 v4, v[0:1], off offset:4
	global_load_b32 v5, v[8:9], off offset:4
	;; [unrolled: 1-line block ×4, first 2 shown]
	s_wait_xcnt 0x1
	v_mov_b64_e32 v[14:15], s[64:65]
	v_mov_b64_e32 v[16:17], s[66:67]
	v_lshl_add_u64 v[0:1], v[72:73], 2, s[50:51]
	s_wait_loadcnt 0x3
	global_load_b32 v8, v4, s[10:11] scale_offset
	s_wait_loadcnt 0x3
	global_load_b32 v9, v5, s[10:11] scale_offset
	;; [unrolled: 2-line block ×4, first 2 shown]
	s_clause 0x1c
	scratch_store_b128 off, v[14:17], off offset:288
	scratch_store_b128 off, v[14:17], off offset:304
	scratch_store_b128 off, v[14:17], off
	scratch_store_b128 off, v[14:17], off offset:16
	scratch_store_b128 off, v[14:17], off offset:336
	;; [unrolled: 1-line block ×21, first 2 shown]
	scratch_store_b64 off, v[90:91], off offset:496
	scratch_store_b64 off, v[90:91], off offset:208
	scratch_store_b128 off, v[14:17], off offset:32
	scratch_store_b128 off, v[4:7], off
	scratch_store_b128 off, v[14:17], off offset:320
	s_wait_loadcnt 0x0
	scratch_store_b128 off, v[8:11], off offset:288
	s_wait_xcnt 0x0
	v_cmpx_lt_i32_e32 0, v12
	s_cbranch_execz .LBB15_47
; %bb.9:                                ;   in Loop: Header=BB15_4 Depth=1
	v_dual_mov_b32 v3, v76 :: v_dual_lshlrev_b32 v2, 2, v2
	v_readlane_b32 s0, v94, 19
	v_readlane_b32 s1, v94, 20
	v_mad_nc_i64_i32 v[4:5], 0xec, v72, v[0:1]
	s_mov_b32 s6, 0
	v_add_nc_u64_e32 v[2:3], s[50:51], v[2:3]
	s_mov_b32 s54, s6
                                        ; implicit-def: $sgpr7
                                        ; implicit-def: $sgpr8
                                        ; implicit-def: $sgpr9
	global_load_b32 v6, v[2:3], off
	scratch_load_b32 v13, off, off offset:216
	global_load_b64 v[2:3], v76, s[0:1]
	s_wait_loadcnt 0x2
	v_dual_mov_b32 v7, v76 :: v_dual_bitop2_b32 v6, 15, v6 bitop3:0x40
	s_wait_loadcnt 0x1
	s_wait_xcnt 0x0
	v_cmp_lt_i32_e64 s0, 0, v13
	s_branch .LBB15_13
.LBB15_10:                              ;   in Loop: Header=BB15_13 Depth=2
	s_wait_xcnt 0x0
	s_or_b32 exec_lo, exec_lo, s12
	s_add_co_i32 s54, s54, 1
	s_xor_b32 s2, exec_lo, -1
	v_cmp_eq_u32_e32 vcc_lo, s54, v12
	s_or_not1_b32 s1, vcc_lo, exec_lo
.LBB15_11:                              ;   in Loop: Header=BB15_13 Depth=2
	s_or_b32 exec_lo, exec_lo, s11
	s_delay_alu instid0(SALU_CYCLE_1)
	s_and_not1_b32 s3, s9, exec_lo
	s_and_b32 s2, s2, exec_lo
	s_and_not1_b32 s8, s8, exec_lo
	s_and_b32 s1, s1, exec_lo
	s_or_b32 s9, s3, s2
	s_or_b32 s8, s8, s1
.LBB15_12:                              ;   in Loop: Header=BB15_13 Depth=2
	s_or_b32 exec_lo, exec_lo, s10
	s_xor_b32 s1, s9, -1
	s_and_b32 s2, exec_lo, s8
	s_delay_alu instid0(SALU_CYCLE_1) | instskip(SKIP_2) | instid1(SALU_CYCLE_1)
	s_or_b32 s6, s2, s6
	s_and_not1_b32 s2, s7, exec_lo
	s_and_b32 s1, s1, exec_lo
	s_or_b32 s7, s2, s1
	s_and_not1_b32 exec_lo, exec_lo, s6
	s_cbranch_execz .LBB15_46
.LBB15_13:                              ;   Parent Loop BB15_4 Depth=1
                                        ; =>  This Loop Header: Depth=2
                                        ;       Child Loop BB15_26 Depth 3
                                        ;       Child Loop BB15_39 Depth 3
	v_lshl_add_u64 v[8:9], s[54:55], 2, v[4:5]
	s_or_b32 s9, s9, exec_lo
	s_or_b32 s8, s8, exec_lo
	s_mov_b32 s10, exec_lo
	global_load_b32 v10, v[8:9], off offset:806352
	s_wait_loadcnt 0x0
	scratch_load_b32 v15, v10, off offset:288 scale_offset
	s_wait_loadcnt 0x0
	v_cmpx_ne_u32_e32 -1, v15
	s_cbranch_execz .LBB15_12
; %bb.14:                               ;   in Loop: Header=BB15_13 Depth=2
	global_load_b32 v11, v[8:9], off offset:859632
	s_mov_b32 s1, -1
	s_mov_b32 s2, -1
	s_mov_b32 s11, exec_lo
	s_wait_loadcnt 0x0
	scratch_load_b32 v16, v11, off offset:288 scale_offset
	s_wait_loadcnt 0x0
	v_cmpx_ne_u32_e32 -1, v16
	s_cbranch_execz .LBB15_11
; %bb.15:                               ;   in Loop: Header=BB15_13 Depth=2
	scratch_load_b32 v14, v10, off scale_offset
	v_max_i32_e32 v15, v15, v16
	s_lshl_b32 s13, s54, 2
	s_mov_b32 s12, exec_lo
	s_add_co_i32 s14, s13, 0x120
	s_delay_alu instid0(VALU_DEP_1)
	v_add_nc_u32_e32 v15, 1, v15
	scratch_store_b32 off, v15, s14 offset:16
	s_wait_loadcnt 0x0
	v_cmpx_ne_u32_e32 -1, v14
	s_cbranch_execz .LBB15_10
; %bb.16:                               ;   in Loop: Header=BB15_13 Depth=2
	scratch_load_b32 v18, v11, off scale_offset
	v_cmp_ne_u32_e64 s1, v14, v40
	s_wait_loadcnt 0x0
	v_cmp_ne_u32_e32 vcc_lo, -1, v18
	v_cmp_ne_u32_e64 s2, v18, v40
	s_and_b32 s1, s1, vcc_lo
	s_delay_alu instid0(SALU_CYCLE_1)
	s_and_b32 s1, s2, s1
	s_wait_xcnt 0x0
	s_and_b32 exec_lo, exec_lo, s1
	s_cbranch_execz .LBB15_10
; %bb.17:                               ;   in Loop: Header=BB15_13 Depth=2
	s_clause 0x1
	global_load_b32 v15, v[8:9], off offset:966192
	global_load_b32 v16, v[8:9], off offset:912912
	s_wait_xcnt 0x0
	v_lshrrev_b64 v[8:9], v11, v[6:7]
	v_lshrrev_b64 v[10:11], v10, v[6:7]
	s_mov_b32 s1, exec_lo
	v_mov_b32_e32 v17, v18
	s_wait_loadcnt 0x1
	s_delay_alu instid0(VALU_DEP_3) | instskip(SKIP_1) | instid1(VALU_DEP_3)
	v_bitop3_b32 v8, v15, v8, 1 bitop3:0x78
	s_wait_loadcnt 0x0
	v_bitop3_b32 v15, v16, v10, 1 bitop3:0x78
	s_delay_alu instid0(VALU_DEP_2)
	v_mov_b32_e32 v16, v8
	v_cmpx_gt_i32_e64 v14, v18
; %bb.18:                               ;   in Loop: Header=BB15_13 Depth=2
	s_delay_alu instid0(VALU_DEP_3)
	v_dual_mov_b32 v16, v15 :: v_dual_mov_b32 v15, v8
	v_dual_mov_b32 v17, v14 :: v_dual_mov_b32 v14, v18
; %bb.19:                               ;   in Loop: Header=BB15_13 Depth=2
	s_or_b32 exec_lo, exec_lo, s1
	global_load_b32 v9, v[2:3], off
	v_mul_lo_u32 v8, 0x38f, v15
	v_mul_lo_u32 v10, 0x161, v16
	;; [unrolled: 1-line block ×4, first 2 shown]
	s_mov_b32 s1, exec_lo
	s_delay_alu instid0(VALU_DEP_3) | instskip(NEXT) | instid1(VALU_DEP_1)
	v_xor_b32_e32 v8, v8, v10
	v_xor3_b32 v8, v8, v18, v11
                                        ; implicit-def: $vgpr10_vgpr11
	s_wait_loadcnt 0x0
	v_readfirstlane_b32 s2, v9
	s_delay_alu instid0(VALU_DEP_2)
	v_ashrrev_i32_e32 v9, 31, v8
	s_ashr_i32 s3, s2, 31
	s_delay_alu instid0(VALU_DEP_1) | instid1(SALU_CYCLE_1)
	v_or_b32_e32 v77, s3, v9
	s_wait_xcnt 0x0
	s_delay_alu instid0(VALU_DEP_1)
	v_cmpx_ne_u64_e32 0, v[76:77]
	s_xor_b32 s15, exec_lo, s1
	s_cbranch_execz .LBB15_21
; %bb.20:                               ;   in Loop: Header=BB15_13 Depth=2
	s_cvt_f32_u32 s1, s2
	s_cvt_f32_u32 s16, s3
	s_sub_nc_u64 s[18:19], 0, s[2:3]
	s_mov_b32 s21, s55
	s_mov_b32 s25, s55
	s_fmamk_f32 s1, s16, 0x4f800000, s1
	v_dual_mov_b32 v10, v8 :: v_dual_mov_b32 v11, v76
	v_dual_mov_b32 v18, v9 :: v_dual_mov_b32 v19, v76
	s_delay_alu instid0(SALU_CYCLE_1) | instskip(SKIP_1) | instid1(TRANS32_DEP_1)
	v_s_rcp_f32 s1, s1
	v_mov_b32_e32 v23, v76
	s_mul_f32 s1, s1, 0x5f7ffffc
	s_delay_alu instid0(SALU_CYCLE_3) | instskip(NEXT) | instid1(SALU_CYCLE_3)
	s_mul_f32 s16, s1, 0x2f800000
	s_trunc_f32 s16, s16
	s_delay_alu instid0(SALU_CYCLE_3) | instskip(SKIP_1) | instid1(SALU_CYCLE_2)
	s_fmamk_f32 s1, s16, 0xcf800000, s1
	s_cvt_u32_f32 s17, s16
	s_cvt_u32_f32 s16, s1
	s_delay_alu instid0(SALU_CYCLE_3) | instskip(NEXT) | instid1(SALU_CYCLE_1)
	s_mul_u64 s[22:23], s[18:19], s[16:17]
	s_mul_hi_u32 s27, s16, s23
	s_mul_i32 s26, s16, s23
	s_mul_hi_u32 s20, s16, s22
	s_mul_i32 s24, s17, s22
	s_add_nc_u64 s[20:21], s[20:21], s[26:27]
	s_mul_hi_u32 s1, s17, s22
	s_mul_hi_u32 s28, s17, s23
	s_add_co_u32 s20, s20, s24
	s_add_co_ci_u32 s24, s21, s1
	s_mul_i32 s22, s17, s23
	s_add_co_ci_u32 s23, s28, 0
	s_delay_alu instid0(SALU_CYCLE_1) | instskip(SKIP_3) | instid1(SALU_CYCLE_1)
	s_add_nc_u64 s[20:21], s[24:25], s[22:23]
	s_mov_b32 s23, s55
	s_add_co_u32 s16, s16, s20
	s_cselect_b32 s1, -1, 0
	s_cmp_lg_u32 s1, 0
	s_add_co_ci_u32 s17, s17, s21
	s_mov_b32 s21, s55
	s_mul_u64 s[18:19], s[18:19], s[16:17]
	s_delay_alu instid0(SALU_CYCLE_1)
	s_mul_hi_u32 s25, s16, s19
	s_mul_i32 s24, s16, s19
	s_mul_hi_u32 s20, s16, s18
	s_mul_i32 s22, s17, s18
	s_add_nc_u64 s[20:21], s[20:21], s[24:25]
	s_mul_hi_u32 s1, s17, s18
	s_mul_hi_u32 s26, s17, s19
	s_mul_i32 s18, s17, s19
	s_add_co_u32 s19, s20, s22
	s_add_co_ci_u32 s22, s21, s1
	s_add_co_ci_u32 s19, s26, 0
	s_mov_b32 s21, s55
	s_add_nc_u64 s[18:19], s[22:23], s[18:19]
	s_delay_alu instid0(SALU_CYCLE_1)
	s_add_co_u32 s16, s16, s18
	s_cselect_b32 s1, -1, 0
	v_mul_hi_u32 v22, v8, s16
	s_cmp_lg_u32 s1, 0
	s_add_co_ci_u32 s20, s17, s19
	s_mov_b64 s[18:19], 0xffffffff
	v_mul_u64_e32 v[10:11], s[20:21], v[10:11]
	s_and_b64 s[18:19], s[16:17], s[18:19]
	s_delay_alu instid0(SALU_CYCLE_1) | instskip(SKIP_1) | instid1(VALU_DEP_3)
	v_mul_u64_e32 v[20:21], s[18:19], v[18:19]
	v_mul_u64_e32 v[18:19], s[20:21], v[18:19]
	v_add_nc_u64_e32 v[10:11], v[22:23], v[10:11]
	s_delay_alu instid0(VALU_DEP_1) | instskip(NEXT) | instid1(VALU_DEP_2)
	v_add_co_u32 v10, vcc_lo, v10, v20
	v_add_co_ci_u32_e32 v22, vcc_lo, v11, v21, vcc_lo
	s_delay_alu instid0(VALU_DEP_4) | instskip(NEXT) | instid1(VALU_DEP_1)
	v_add_co_ci_u32_e32 v19, vcc_lo, 0, v19, vcc_lo
	v_add_nc_u64_e32 v[10:11], v[22:23], v[18:19]
	s_delay_alu instid0(VALU_DEP_1) | instskip(NEXT) | instid1(VALU_DEP_1)
	v_mul_u64_e32 v[10:11], s[2:3], v[10:11]
	v_sub_nc_u32_e32 v18, v9, v11
	s_delay_alu instid0(VALU_DEP_2) | instskip(NEXT) | instid1(VALU_DEP_1)
	v_sub_co_u32 v8, vcc_lo, v8, v10
	v_sub_co_ci_u32_e64 v9, null, v9, v11, vcc_lo
	s_delay_alu instid0(VALU_DEP_3) | instskip(NEXT) | instid1(VALU_DEP_3)
	v_subrev_co_ci_u32_e64 v10, null, s3, v18, vcc_lo
	v_sub_co_u32 v11, vcc_lo, v8, s2
	v_cmp_le_u32_e64 s1, s2, v8
	s_delay_alu instid0(VALU_DEP_3) | instskip(SKIP_1) | instid1(VALU_DEP_3)
	v_subrev_co_ci_u32_e64 v18, null, 0, v10, vcc_lo
	v_subrev_co_ci_u32_e64 v10, null, s3, v10, vcc_lo
	v_cndmask_b32_e64 v19, 0, -1, s1
	v_cmp_le_u32_e64 s1, s2, v11
	v_cmp_le_u32_e32 vcc_lo, s3, v9
	s_delay_alu instid0(VALU_DEP_2) | instskip(SKIP_3) | instid1(VALU_DEP_3)
	v_cndmask_b32_e64 v20, 0, -1, s1
	v_cmp_le_u32_e64 s1, s3, v18
	v_cndmask_b32_e64 v22, 0, -1, vcc_lo
	v_cmp_eq_u32_e32 vcc_lo, s3, v18
	v_cndmask_b32_e64 v21, 0, -1, s1
	v_cmp_eq_u32_e64 s1, s3, v9
	s_delay_alu instid0(VALU_DEP_1) | instskip(SKIP_1) | instid1(VALU_DEP_1)
	v_dual_cndmask_b32 v20, v21, v20, vcc_lo :: v_dual_cndmask_b32 v19, v22, v19, s1
	v_sub_co_u32 v21, vcc_lo, v11, s2
	v_subrev_co_ci_u32_e64 v10, null, 0, v10, vcc_lo
	s_delay_alu instid0(VALU_DEP_3) | instskip(NEXT) | instid1(VALU_DEP_2)
	v_cmp_ne_u32_e32 vcc_lo, 0, v20
	v_dual_cndmask_b32 v10, v18, v10, vcc_lo :: v_dual_cndmask_b32 v18, v11, v21, vcc_lo
	v_cmp_ne_u32_e32 vcc_lo, 0, v19
	s_delay_alu instid0(VALU_DEP_2) | instskip(NEXT) | instid1(VALU_DEP_3)
	v_cndmask_b32_e32 v11, v9, v10, vcc_lo
	v_cndmask_b32_e32 v10, v8, v18, vcc_lo
                                        ; implicit-def: $vgpr8_vgpr9
.LBB15_21:                              ;   in Loop: Header=BB15_13 Depth=2
	s_and_not1_saveexec_b32 s1, s15
	s_cbranch_execz .LBB15_23
; %bb.22:                               ;   in Loop: Header=BB15_13 Depth=2
	v_cvt_f32_u32_e32 v9, s2
	s_sub_co_i32 s3, 0, s2
	v_mov_b32_e32 v11, v76
	s_delay_alu instid0(VALU_DEP_2) | instskip(SKIP_1) | instid1(TRANS32_DEP_1)
	v_rcp_iflag_f32_e32 v9, v9
	v_nop
	v_mul_f32_e32 v9, 0x4f7ffffe, v9
	s_delay_alu instid0(VALU_DEP_1) | instskip(NEXT) | instid1(VALU_DEP_1)
	v_cvt_u32_f32_e32 v9, v9
	v_mul_lo_u32 v10, s3, v9
	s_delay_alu instid0(VALU_DEP_1) | instskip(NEXT) | instid1(VALU_DEP_1)
	v_mul_hi_u32 v10, v9, v10
	v_add_nc_u32_e32 v9, v9, v10
	s_delay_alu instid0(VALU_DEP_1) | instskip(NEXT) | instid1(VALU_DEP_1)
	v_mul_hi_u32 v9, v8, v9
	v_mul_lo_u32 v9, v9, s2
	s_delay_alu instid0(VALU_DEP_1) | instskip(NEXT) | instid1(VALU_DEP_1)
	v_sub_nc_u32_e32 v8, v8, v9
	v_subrev_nc_u32_e32 v9, s2, v8
	v_cmp_le_u32_e32 vcc_lo, s2, v8
	s_delay_alu instid0(VALU_DEP_2) | instskip(NEXT) | instid1(VALU_DEP_1)
	v_cndmask_b32_e32 v8, v8, v9, vcc_lo
	v_subrev_nc_u32_e32 v9, s2, v8
	v_cmp_le_u32_e32 vcc_lo, s2, v8
	s_delay_alu instid0(VALU_DEP_2)
	v_cndmask_b32_e32 v10, v8, v9, vcc_lo
.LBB15_23:                              ;   in Loop: Header=BB15_13 Depth=2
	s_or_b32 exec_lo, exec_lo, s1
	s_mov_b32 s1, 0
                                        ; implicit-def: $sgpr2
                                        ; implicit-def: $vgpr18
	s_branch .LBB15_26
.LBB15_24:                              ;   in Loop: Header=BB15_26 Depth=3
	s_or_b32 exec_lo, exec_lo, s17
	s_xor_b32 s15, s16, -1
	s_and_not1_b32 s2, s2, exec_lo
	s_and_b32 s15, s15, exec_lo
	s_delay_alu instid0(SALU_CYCLE_1)
	s_or_b32 s2, s2, s15
.LBB15_25:                              ;   in Loop: Header=BB15_26 Depth=3
	s_or_b32 exec_lo, exec_lo, s3
	v_mov_b32_e32 v18, v8
	s_and_b32 s3, exec_lo, s2
	s_delay_alu instid0(SALU_CYCLE_1) | instskip(NEXT) | instid1(SALU_CYCLE_1)
	s_or_b32 s1, s3, s1
	s_and_not1_b32 exec_lo, exec_lo, s1
	s_cbranch_execz .LBB15_35
.LBB15_26:                              ;   Parent Loop BB15_4 Depth=1
                                        ;     Parent Loop BB15_13 Depth=2
                                        ; =>    This Inner Loop Header: Depth=3
	s_delay_alu instid0(VALU_DEP_1)
	v_lshl_add_u64 v[8:9], v[10:11], 3, s[52:53]
	s_or_b32 s2, s2, exec_lo
	s_mov_b32 s3, exec_lo
	global_load_b32 v10, v[8:9], off offset:4
	s_wait_xcnt 0x0
	v_mov_b32_e32 v8, -1
	s_wait_loadcnt 0x0
	v_cmpx_ne_u32_e32 -1, v10
	s_cbranch_execz .LBB15_25
; %bb.27:                               ;   in Loop: Header=BB15_26 Depth=3
	v_ashrrev_i32_e32 v11, 31, v10
	s_load_b512 s[16:31], s[38:39], 0x8
	s_wait_kmcnt 0x0
	s_mov_b32 s16, exec_lo
	s_delay_alu instid0(VALU_DEP_1)
	v_lshl_add_u64 v[8:9], v[10:11], 3, s[52:53]
	global_load_b32 v8, v[8:9], off
	s_wait_loadcnt 0x0
	global_load_b32 v9, v8, s[18:19] scale_offset
	s_wait_loadcnt 0x0
	v_cmp_ne_u32_e64 s15, v9, v14
	s_wait_xcnt 0x0
	v_cmpx_eq_u32_e64 v9, v14
	s_cbranch_execz .LBB15_33
; %bb.28:                               ;   in Loop: Header=BB15_26 Depth=3
	s_load_b512 s[68:83], s[38:39], 0x8
	v_ashrrev_i32_e32 v9, 31, v8
	s_mov_b32 s18, exec_lo
	s_wait_kmcnt 0x0
	s_delay_alu instid0(VALU_DEP_1)
	v_lshl_add_u64 v[20:21], v[8:9], 2, s[72:73]
	global_load_b32 v19, v[20:21], off
	s_wait_loadcnt 0x0
	v_cmp_ne_u32_e64 s17, v19, v17
	s_wait_xcnt 0x0
	v_cmpx_eq_u32_e64 v19, v17
	s_cbranch_execz .LBB15_32
; %bb.29:                               ;   in Loop: Header=BB15_26 Depth=3
	s_load_b512 s[68:83], s[38:39], 0x8
	s_mov_b32 s20, exec_lo
	s_wait_kmcnt 0x0
	v_lshl_add_u64 v[20:21], v[8:9], 2, s[74:75]
	global_load_b32 v19, v[20:21], off
	s_wait_loadcnt 0x0
	v_cmp_ne_u32_e64 s19, v19, v15
	s_wait_xcnt 0x0
	v_cmpx_eq_u32_e64 v19, v15
	s_cbranch_execz .LBB15_31
; %bb.30:                               ;   in Loop: Header=BB15_26 Depth=3
	s_load_b512 s[68:83], s[38:39], 0x8
	s_and_not1_b32 s19, s19, exec_lo
	s_wait_kmcnt 0x0
	v_lshl_add_u64 v[20:21], v[8:9], 2, s[76:77]
	global_load_b32 v9, v[20:21], off
	s_wait_loadcnt 0x0
	v_cmp_ne_u32_e32 vcc_lo, v9, v16
	s_and_b32 s21, vcc_lo, exec_lo
	s_delay_alu instid0(SALU_CYCLE_1)
	s_or_b32 s19, s19, s21
.LBB15_31:                              ;   in Loop: Header=BB15_26 Depth=3
	s_wait_xcnt 0x0
	s_or_b32 exec_lo, exec_lo, s20
	s_delay_alu instid0(SALU_CYCLE_1) | instskip(SKIP_1) | instid1(SALU_CYCLE_1)
	s_and_not1_b32 s17, s17, exec_lo
	s_and_b32 s19, s19, exec_lo
	s_or_b32 s17, s17, s19
.LBB15_32:                              ;   in Loop: Header=BB15_26 Depth=3
	s_or_b32 exec_lo, exec_lo, s18
	s_delay_alu instid0(SALU_CYCLE_1) | instskip(SKIP_1) | instid1(SALU_CYCLE_1)
	s_and_not1_b32 s15, s15, exec_lo
	s_and_b32 s17, s17, exec_lo
	s_or_b32 s15, s15, s17
.LBB15_33:                              ;   in Loop: Header=BB15_26 Depth=3
	s_or_b32 exec_lo, exec_lo, s16
	s_mov_b32 s16, 0
	s_and_saveexec_b32 s17, s15
	s_cbranch_execz .LBB15_24
; %bb.34:                               ;   in Loop: Header=BB15_26 Depth=3
	v_mov_b32_e32 v8, v18
	s_mov_b32 s16, exec_lo
	s_branch .LBB15_24
.LBB15_35:                              ;   in Loop: Header=BB15_13 Depth=2
	s_or_b32 exec_lo, exec_lo, s1
	v_cmp_ne_u32_e32 vcc_lo, -1, v8
	s_and_b32 exec_lo, exec_lo, vcc_lo
	s_cbranch_execz .LBB15_10
; %bb.36:                               ;   in Loop: Header=BB15_13 Depth=2
	s_mov_b32 s2, -1
	s_and_saveexec_b32 s1, s0
	s_cbranch_execz .LBB15_44
; %bb.37:                               ;   in Loop: Header=BB15_13 Depth=2
	s_movk_i32 s3, 0xe0
	s_mov_b32 s2, 0
	s_mov_b32 s18, 0
                                        ; implicit-def: $sgpr15
                                        ; implicit-def: $sgpr17
                                        ; implicit-def: $sgpr16
	s_branch .LBB15_39
.LBB15_38:                              ;   in Loop: Header=BB15_39 Depth=3
	s_or_b32 exec_lo, exec_lo, s20
	s_delay_alu instid0(SALU_CYCLE_1) | instskip(SKIP_4) | instid1(SALU_CYCLE_1)
	s_and_b32 s20, exec_lo, s17
	v_mov_b32_e32 v9, s18
	s_or_b32 s2, s20, s2
	s_and_not1_b32 s15, s15, exec_lo
	s_and_b32 s18, s16, exec_lo
	s_or_b32 s15, s15, s18
	s_mov_b32 s18, s19
	s_and_not1_b32 exec_lo, exec_lo, s2
	s_cbranch_execz .LBB15_41
.LBB15_39:                              ;   Parent Loop BB15_4 Depth=1
                                        ;     Parent Loop BB15_13 Depth=2
                                        ; =>    This Inner Loop Header: Depth=3
	scratch_load_b32 v9, off, s3
	s_or_b32 s16, s16, exec_lo
	s_or_b32 s17, s17, exec_lo
	s_mov_b32 s20, exec_lo
                                        ; implicit-def: $sgpr19
	s_wait_loadcnt 0x0
	v_cmpx_ne_u32_e64 v9, v8
	s_cbranch_execz .LBB15_38
; %bb.40:                               ;   in Loop: Header=BB15_39 Depth=3
	s_add_co_i32 s19, s18, 1
	s_and_not1_b32 s17, s17, exec_lo
	v_cmp_eq_u32_e32 vcc_lo, s19, v13
	s_add_co_i32 s3, s3, 4
	s_and_not1_b32 s16, s16, exec_lo
	s_and_b32 s21, vcc_lo, exec_lo
	s_delay_alu instid0(SALU_CYCLE_1)
	s_or_b32 s17, s17, s21
	s_branch .LBB15_38
.LBB15_41:                              ;   in Loop: Header=BB15_13 Depth=2
	s_or_b32 exec_lo, exec_lo, s2
	s_mov_b32 s2, -1
	s_and_saveexec_b32 s3, s15
	s_delay_alu instid0(SALU_CYCLE_1)
	s_xor_b32 s3, exec_lo, s3
	s_cbranch_execz .LBB15_43
; %bb.42:                               ;   in Loop: Header=BB15_13 Depth=2
	scratch_load_b32 v9, v9, off offset:256 scale_offset
	s_wait_loadcnt 0x0
	v_cmp_ne_u32_e32 vcc_lo, 0, v9
	s_or_not1_b32 s2, vcc_lo, exec_lo
.LBB15_43:                              ;   in Loop: Header=BB15_13 Depth=2
	s_wait_xcnt 0x0
	s_or_b32 exec_lo, exec_lo, s3
	s_delay_alu instid0(SALU_CYCLE_1)
	s_or_not1_b32 s2, s2, exec_lo
.LBB15_44:                              ;   in Loop: Header=BB15_13 Depth=2
	s_or_b32 exec_lo, exec_lo, s1
	s_delay_alu instid0(SALU_CYCLE_1)
	s_and_b32 exec_lo, exec_lo, s2
	s_cbranch_execz .LBB15_10
; %bb.45:                               ;   in Loop: Header=BB15_13 Depth=2
	s_load_b512 s[16:31], s[38:39], 0x8
	s_wait_kmcnt 0x0
	global_load_b32 v9, v8, s[26:27] scale_offset
	scratch_store_b32 off, v8, s13 offset:16
	s_wait_loadcnt 0x0
	scratch_store_b32 off, v9, s14 offset:16
	s_branch .LBB15_10
.LBB15_46:                              ;   in Loop: Header=BB15_4 Depth=1
	s_or_b32 exec_lo, exec_lo, s6
	s_delay_alu instid0(SALU_CYCLE_1)
	s_or_not1_b32 s2, s7, exec_lo
.LBB15_47:                              ;   in Loop: Header=BB15_4 Depth=1
	s_or_b32 exec_lo, exec_lo, s5
	s_mov_b32 s0, 0
	s_mov_b32 s1, s102
	s_and_saveexec_b32 s3, s2
	s_delay_alu instid0(SALU_CYCLE_1)
	s_xor_b32 s54, exec_lo, s3
	s_cbranch_execz .LBB15_65
; %bb.48:                               ;   in Loop: Header=BB15_4 Depth=1
	global_load_b32 v73, v[0:1], off offset:787704
	s_mov_b32 s0, -1
	s_mov_b32 s65, exec_lo
	s_wait_loadcnt 0x0
	v_cmpx_lt_i32_e32 0, v73
	s_cbranch_execz .LBB15_62
; %bb.49:                               ;   in Loop: Header=BB15_4 Depth=1
	v_readlane_b32 s0, v94, 17
	v_readlane_b32 s1, v94, 18
	s_mov_b32 s67, -2
	s_mov_b32 s66, 0
	s_mov_b32 s104, 0
                                        ; implicit-def: $sgpr86
	v_mad_nc_i64_i32 v[74:75], 0x50, v72, s[0:1]
	s_branch .LBB15_51
.LBB15_50:                              ;   in Loop: Header=BB15_51 Depth=2
	s_or_b32 exec_lo, exec_lo, s2
	s_xor_b32 s0, s1, -1
	s_and_b32 s1, exec_lo, s80
	s_delay_alu instid0(SALU_CYCLE_1) | instskip(SKIP_2) | instid1(SALU_CYCLE_1)
	s_or_b32 s66, s1, s66
	s_and_not1_b32 s1, s86, exec_lo
	s_and_b32 s0, s0, exec_lo
	s_or_b32 s86, s1, s0
	s_and_not1_b32 exec_lo, exec_lo, s66
	s_cbranch_execz .LBB15_61
.LBB15_51:                              ;   Parent Loop BB15_4 Depth=1
                                        ; =>  This Inner Loop Header: Depth=2
	global_load_b32 v42, v[74:75], off
	s_mov_b32 s80, -1
	s_mov_b32 s0, -1
	s_mov_b32 s81, exec_lo
	s_wait_loadcnt 0x0
	scratch_load_b32 v0, v42, off scale_offset
	s_wait_loadcnt 0x0
	v_cmpx_ne_u32_e64 v0, v40
	s_cbranch_execz .LBB15_59
; %bb.52:                               ;   in Loop: Header=BB15_51 Depth=2
	v_dual_mov_b32 v0, v42 :: v_dual_mov_b32 v1, v60
	v_dual_mov_b32 v2, v61 :: v_dual_mov_b32 v3, v72
	;; [unrolled: 1-line block ×3, first 2 shown]
	v_mov_b32_e32 v6, s67
	s_get_pc_i64 s[0:1]
	s_add_nc_u64 s[0:1], s[0:1], _Z4EvaliPiiPN2rw7LibraryEi@rel64+4
	s_delay_alu instid0(SALU_CYCLE_1)
	s_swap_pc_i64 s[30:31], s[0:1]
	scratch_load_b32 v1, v42, off offset:288 scale_offset
	s_mov_b32 s0, 0
	s_mov_b32 s1, exec_lo
	s_wait_loadcnt 0x0
	v_cmpx_ne_u32_e32 -1, v1
	s_cbranch_execz .LBB15_58
; %bb.53:                               ;   in Loop: Header=BB15_51 Depth=2
	s_load_b32 s0, s[38:39], 0x68
	v_dual_sub_nc_u32 v0, v41, v0 :: v_dual_max_i32 v3, 0, v57
	s_wait_kmcnt 0x0
	s_delay_alu instid0(VALU_DEP_1) | instskip(NEXT) | instid1(VALU_DEP_2)
	v_or_b32_e32 v2, s0, v0
	v_cmp_le_i32_e64 s0, v3, v0
	s_delay_alu instid0(VALU_DEP_2) | instskip(SKIP_1) | instid1(SALU_CYCLE_1)
	v_cmp_ne_u32_e32 vcc_lo, 0, v2
	s_and_b32 s0, s0, vcc_lo
	s_and_saveexec_b32 s2, s0
	s_cbranch_execz .LBB15_57
; %bb.54:                               ;   in Loop: Header=BB15_51 Depth=2
	v_cmp_ne_u32_e32 vcc_lo, v0, v57
	v_cmp_lt_i32_e64 s0, v1, v58
	s_or_b32 s3, vcc_lo, s0
	s_delay_alu instid0(SALU_CYCLE_1)
	s_and_saveexec_b32 s0, s3
; %bb.55:                               ;   in Loop: Header=BB15_51 Depth=2
	v_dual_mov_b32 v56, s96 :: v_dual_mov_b32 v44, s104
	v_dual_mov_b32 v57, v0 :: v_dual_mov_b32 v58, v1
; %bb.56:                               ;   in Loop: Header=BB15_51 Depth=2
	s_or_b32 exec_lo, exec_lo, s0
.LBB15_57:                              ;   in Loop: Header=BB15_51 Depth=2
	s_delay_alu instid0(SALU_CYCLE_1) | instskip(NEXT) | instid1(SALU_CYCLE_1)
	s_or_b32 exec_lo, exec_lo, s2
	s_mov_b32 s0, exec_lo
.LBB15_58:                              ;   in Loop: Header=BB15_51 Depth=2
	s_or_b32 exec_lo, exec_lo, s1
	s_delay_alu instid0(SALU_CYCLE_1)
	s_or_not1_b32 s0, s0, exec_lo
.LBB15_59:                              ;   in Loop: Header=BB15_51 Depth=2
	s_or_b32 exec_lo, exec_lo, s81
	s_mov_b32 s1, -1
	s_and_saveexec_b32 s2, s0
	s_cbranch_execz .LBB15_50
; %bb.60:                               ;   in Loop: Header=BB15_51 Depth=2
	s_add_co_i32 s104, s104, 1
	v_add_nc_u64_e32 v[74:75], 4, v[74:75]
	v_cmp_eq_u32_e32 vcc_lo, s104, v73
	s_add_co_i32 s67, s67, -1
	s_xor_b32 s1, exec_lo, -1
	s_or_not1_b32 s80, vcc_lo, exec_lo
	s_branch .LBB15_50
.LBB15_61:                              ;   in Loop: Header=BB15_4 Depth=1
	s_or_b32 exec_lo, exec_lo, s66
	s_delay_alu instid0(SALU_CYCLE_1)
	s_or_not1_b32 s0, s86, exec_lo
.LBB15_62:                              ;   in Loop: Header=BB15_4 Depth=1
	s_or_b32 exec_lo, exec_lo, s65
	s_mov_b32 s1, s102
	s_and_saveexec_b32 s2, s0
	s_cbranch_execz .LBB15_64
; %bb.63:                               ;   in Loop: Header=BB15_4 Depth=1
	global_load_b32 v0, v[92:93], off offset:20
	v_lshlrev_b32_e32 v1, 27, v59
	s_or_b32 s1, s102, exec_lo
	s_wait_loadcnt 0x0
	s_delay_alu instid0(VALU_DEP_1)
	v_and_or_b32 v0, 0x87ffffff, v0, v1
	global_store_b32 v[92:93], v0, off offset:20
.LBB15_64:                              ;   in Loop: Header=BB15_4 Depth=1
	s_wait_xcnt 0x0
	s_or_b32 exec_lo, exec_lo, s2
	s_delay_alu instid0(SALU_CYCLE_1)
	s_and_not1_b32 s2, s102, exec_lo
	s_and_b32 s1, s1, exec_lo
	s_mov_b32 s0, exec_lo
	s_xor_b32 s4, exec_lo, -1
	s_or_b32 s1, s2, s1
.LBB15_65:                              ;   in Loop: Header=BB15_4 Depth=1
	s_or_b32 exec_lo, exec_lo, s54
	s_delay_alu instid0(SALU_CYCLE_1) | instskip(SKIP_1) | instid1(SALU_CYCLE_1)
	s_and_not1_b32 s2, s102, exec_lo
	s_and_b32 s1, s1, exec_lo
	s_or_b32 s102, s2, s1
.LBB15_66:                              ;   in Loop: Header=BB15_4 Depth=1
	s_or_b32 exec_lo, exec_lo, s103
	s_delay_alu instid0(SALU_CYCLE_1)
	s_or_not1_b32 s1, s102, exec_lo
.LBB15_67:                              ;   in Loop: Header=BB15_4 Depth=1
	s_or_b32 exec_lo, exec_lo, s101
	s_delay_alu instid0(SALU_CYCLE_1)
	s_and_not1_b32 s3, s100, exec_lo
	s_and_b32 s0, s0, exec_lo
	s_and_not1_b32 s5, s99, exec_lo
	s_and_b32 s4, s4, exec_lo
	s_mov_b32 s2, -1
	s_or_b32 s100, s3, s0
	s_or_b32 s99, s5, s4
	s_and_saveexec_b32 s0, s1
	s_cbranch_execz .LBB15_3
; %bb.68:                               ;   in Loop: Header=BB15_4 Depth=1
	s_add_co_i32 s96, s96, 1
	s_delay_alu instid0(SALU_CYCLE_1)
	s_cmp_eq_u32 s96, 8
	s_cselect_b32 s1, -1, 0
	s_and_not1_b32 s100, s100, exec_lo
	s_and_not1_b32 s99, s99, exec_lo
	s_or_not1_b32 s2, s1, exec_lo
	s_branch .LBB15_3
.LBB15_69:
	s_or_b32 exec_lo, exec_lo, s87
	s_xor_b32 s0, s98, -1
	s_xor_b32 s1, s97, -1
	s_mov_b32 s22, 0
	s_and_saveexec_b32 s2, s1
	v_readlane_b32 s23, v94, 16
	s_xor_b32 s21, exec_lo, s2
	s_cbranch_execnz .LBB15_77
; %bb.70:
	s_and_not1_saveexec_b32 s21, s21
	s_cbranch_execnz .LBB15_88
.LBB15_71:
	s_or_b32 exec_lo, exec_lo, s21
	s_and_saveexec_b32 s0, s22
.LBB15_72:
	; divergent unreachable
.LBB15_73:
	s_delay_alu instid0(SALU_CYCLE_1)
	s_or_b32 exec_lo, exec_lo, s0
                                        ; implicit-def: $vgpr46_vgpr47
.LBB15_74:
	s_and_not1_saveexec_b32 s0, s23
	s_cbranch_execz .LBB15_76
; %bb.75:
	v_readlane_b32 s0, v94, 0
	v_readlane_b32 s14, v94, 14
	;; [unrolled: 1-line block ×3, first 2 shown]
	v_mov_b32_e32 v2, 0
	v_readlane_b32 s1, v94, 1
	v_readlane_b32 s2, v94, 2
	;; [unrolled: 1-line block ×3, first 2 shown]
	v_mad_nc_i64_i32 v[0:1], v46, 28, s[14:15]
	v_readlane_b32 s4, v94, 4
	v_readlane_b32 s5, v94, 5
	;; [unrolled: 1-line block ×10, first 2 shown]
	global_store_b8 v[0:1], v2, off offset:52
.LBB15_76:
	s_endpgm
.LBB15_77:
	s_and_saveexec_b32 s1, s0
	s_delay_alu instid0(SALU_CYCLE_1)
	s_xor_b32 s0, exec_lo, s1
	s_cbranch_execz .LBB15_85
; %bb.78:
	s_mov_b32 s1, exec_lo
	v_cmpx_ne_u32_e32 -1, v56
	s_xor_b32 s1, exec_lo, s1
	s_cbranch_execz .LBB15_82
; %bb.79:
	s_mov_b32 s3, exec_lo
	s_mov_b32 s2, exec_lo
	v_mbcnt_lo_u32_b32 v0, s3, 0
	s_delay_alu instid0(VALU_DEP_1)
	v_cmpx_eq_u32_e32 0, v0
	s_cbranch_execz .LBB15_81
; %bb.80:
	s_bcnt1_i32_b32 s3, s3
	s_delay_alu instid0(SALU_CYCLE_1)
	v_dual_mov_b32 v0, 0 :: v_dual_mov_b32 v2, s3
	s_get_pc_i64 s[4:5]
	s_add_nc_u64 s[4:5], s[4:5], GPUexpected@rel64+4
	global_load_b64 v[0:1], v0, s[4:5]
	s_wait_xcnt 0x0
	s_wait_loadcnt 0x0
	global_atomic_add_u32 v[0:1], v2, off scope:SCOPE_DEV
.LBB15_81:
	s_wait_xcnt 0x0
	s_or_b32 exec_lo, exec_lo, s2
	s_load_b512 s[4:19], s[38:39], 0x8
	v_dual_add_nc_u32 v0, v56, v43 :: v_dual_mov_b32 v12, 1
	s_wait_kmcnt 0x0
	s_delay_alu instid0(VALU_DEP_1)
	v_mad_nc_i64_i32 v[8:9], v0, 28, s[16:17]
	v_lshl_add_u64 v[10:11], v[46:47], 2, s[4:5]
	s_clause 0x1
	global_load_b128 v[0:3], v[8:9], off offset:12
	global_load_b128 v[4:7], v[8:9], off
	s_wait_xcnt 0x0
	v_mad_nc_i64_i32 v[8:9], v46, 28, s[18:19]
                                        ; implicit-def: $vgpr46_vgpr47
	s_wait_loadcnt 0x1
	global_store_b128 v[8:9], v[0:3], off offset:40
	s_wait_loadcnt 0x0
	s_clause 0x1
	global_store_b128 v[8:9], v[4:7], off offset:28
	global_store_b8 v[8:9], v12, off offset:52
	global_store_b32 v[10:11], v44, off offset:4
.LBB15_82:
	s_wait_xcnt 0x0
	s_and_not1_saveexec_b32 s1, s1
	s_cbranch_execz .LBB15_84
; %bb.83:
	s_load_b512 s[4:19], s[38:39], 0x8
	v_mov_b32_e32 v2, 0
	s_wait_kmcnt 0x0
	v_mad_nc_i64_i32 v[0:1], v46, 28, s[18:19]
	global_store_b8 v[0:1], v2, off offset:52
.LBB15_84:
	s_wait_xcnt 0x0
	s_or_b32 exec_lo, exec_lo, s1
.LBB15_85:
	s_or_saveexec_b32 s22, s0
	s_mov_b32 s0, 0
	s_xor_b32 exec_lo, exec_lo, s22
	s_cbranch_execz .LBB15_87
; %bb.86:
	s_get_pc_i64 s[0:1]
	s_add_nc_u64 s[0:1], s[0:1], .str.2@rel64+4
	s_get_pc_i64 s[2:3]
	s_add_nc_u64 s[2:3], s[2:3], __PRETTY_FUNCTION__._Z16EvaluateNodeWaveiPiS_S_S_S_S_PN2rw3CutES2_S_PNS0_7LibraryEPNS0_9TableNodeEPKii@rel64+4
	v_dual_mov_b32 v0, s0 :: v_dual_mov_b32 v1, s1
	v_dual_mov_b32 v2, 0x405 :: v_dual_mov_b32 v3, s2
	v_mov_b32_e32 v4, s3
	s_add_nc_u64 s[8:9], s[38:39], 0x70
	s_get_pc_i64 s[4:5]
	s_add_nc_u64 s[4:5], s[4:5], __assert_fail@rel64+4
	s_delay_alu instid0(SALU_CYCLE_1)
	s_swap_pc_i64 s[30:31], s[4:5]
	s_mov_b32 s0, exec_lo
.LBB15_87:
	s_or_b32 exec_lo, exec_lo, s22
	s_delay_alu instid0(SALU_CYCLE_1)
	s_and_b32 s22, s0, exec_lo
	s_and_not1_saveexec_b32 s21, s21
	s_cbranch_execz .LBB15_71
.LBB15_88:
	s_get_pc_i64 s[0:1]
	s_add_nc_u64 s[0:1], s[0:1], .str@rel64+4
	s_get_pc_i64 s[2:3]
	s_add_nc_u64 s[2:3], s[2:3], __PRETTY_FUNCTION__._Z16EvaluateNodeWaveiPiS_S_S_S_S_PN2rw3CutES2_S_PNS0_7LibraryEPNS0_9TableNodeEPKii@rel64+4
	v_dual_mov_b32 v0, s0 :: v_dual_mov_b32 v1, s1
	v_dual_mov_b32 v2, 0x3f6 :: v_dual_mov_b32 v3, s2
	v_mov_b32_e32 v4, s3
	s_add_nc_u64 s[8:9], s[38:39], 0x70
	s_get_pc_i64 s[4:5]
	s_add_nc_u64 s[4:5], s[4:5], __assert_fail@rel64+4
	s_delay_alu instid0(SALU_CYCLE_1)
	s_swap_pc_i64 s[30:31], s[4:5]
	s_or_b32 s22, s22, exec_lo
	s_or_b32 exec_lo, exec_lo, s21
	s_and_saveexec_b32 s0, s22
	s_cbranch_execnz .LBB15_72
	s_branch .LBB15_73
	.section	.rodata,"a",@progbits
	.p2align	6, 0x0
	.amdhsa_kernel _Z16EvaluateNodeWaveiPiS_S_S_S_S_PN2rw3CutES2_S_PNS0_7LibraryEPNS0_9TableNodeEPKii
		.amdhsa_group_segment_fixed_size 0
		.amdhsa_private_segment_fixed_size 608
		.amdhsa_kernarg_size 368
		.amdhsa_user_sgpr_count 2
		.amdhsa_user_sgpr_dispatch_ptr 0
		.amdhsa_user_sgpr_queue_ptr 0
		.amdhsa_user_sgpr_kernarg_segment_ptr 1
		.amdhsa_user_sgpr_dispatch_id 0
		.amdhsa_user_sgpr_kernarg_preload_length 0
		.amdhsa_user_sgpr_kernarg_preload_offset 0
		.amdhsa_user_sgpr_private_segment_size 0
		.amdhsa_wavefront_size32 1
		.amdhsa_uses_dynamic_stack 1
		.amdhsa_enable_private_segment 1
		.amdhsa_system_sgpr_workgroup_id_x 1
		.amdhsa_system_sgpr_workgroup_id_y 0
		.amdhsa_system_sgpr_workgroup_id_z 0
		.amdhsa_system_sgpr_workgroup_info 0
		.amdhsa_system_vgpr_workitem_id 0
		.amdhsa_next_free_vgpr 95
		.amdhsa_next_free_sgpr 105
		.amdhsa_named_barrier_count 0
		.amdhsa_reserve_vcc 1
		.amdhsa_float_round_mode_32 0
		.amdhsa_float_round_mode_16_64 0
		.amdhsa_float_denorm_mode_32 3
		.amdhsa_float_denorm_mode_16_64 3
		.amdhsa_fp16_overflow 0
		.amdhsa_memory_ordered 1
		.amdhsa_forward_progress 1
		.amdhsa_inst_pref_size 41
		.amdhsa_round_robin_scheduling 0
		.amdhsa_exception_fp_ieee_invalid_op 0
		.amdhsa_exception_fp_denorm_src 0
		.amdhsa_exception_fp_ieee_div_zero 0
		.amdhsa_exception_fp_ieee_overflow 0
		.amdhsa_exception_fp_ieee_underflow 0
		.amdhsa_exception_fp_ieee_inexact 0
		.amdhsa_exception_int_div_zero 0
	.end_amdhsa_kernel
	.text
.Lfunc_end15:
	.size	_Z16EvaluateNodeWaveiPiS_S_S_S_S_PN2rw3CutES2_S_PNS0_7LibraryEPNS0_9TableNodeEPKii, .Lfunc_end15-_Z16EvaluateNodeWaveiPiS_S_S_S_S_PN2rw3CutES2_S_PNS0_7LibraryEPNS0_9TableNodeEPKii
                                        ; -- End function
	.set _Z16EvaluateNodeWaveiPiS_S_S_S_S_PN2rw3CutES2_S_PNS0_7LibraryEPNS0_9TableNodeEPKii.num_vgpr, max(95, .L_Z8CalcMFFCiPN2rw3CutEPiS2_S2_S2_S2_S2_i.num_vgpr, .L_Z4EvaliPiiPN2rw7LibraryEi.num_vgpr, .L__assert_fail.num_vgpr)
	.set _Z16EvaluateNodeWaveiPiS_S_S_S_S_PN2rw3CutES2_S_PNS0_7LibraryEPNS0_9TableNodeEPKii.num_agpr, max(0, .L_Z8CalcMFFCiPN2rw3CutEPiS2_S2_S2_S2_S2_i.num_agpr, .L_Z4EvaliPiiPN2rw7LibraryEi.num_agpr, .L__assert_fail.num_agpr)
	.set _Z16EvaluateNodeWaveiPiS_S_S_S_S_PN2rw3CutES2_S_PNS0_7LibraryEPNS0_9TableNodeEPKii.numbered_sgpr, max(105, .L_Z8CalcMFFCiPN2rw3CutEPiS2_S2_S2_S2_S2_i.numbered_sgpr, .L_Z4EvaliPiiPN2rw7LibraryEi.numbered_sgpr, .L__assert_fail.numbered_sgpr)
	.set _Z16EvaluateNodeWaveiPiS_S_S_S_S_PN2rw3CutES2_S_PNS0_7LibraryEPNS0_9TableNodeEPKii.num_named_barrier, max(0, .L_Z8CalcMFFCiPN2rw3CutEPiS2_S2_S2_S2_S2_i.num_named_barrier, .L_Z4EvaliPiiPN2rw7LibraryEi.num_named_barrier, .L__assert_fail.num_named_barrier)
	.set _Z16EvaluateNodeWaveiPiS_S_S_S_S_PN2rw3CutES2_S_PNS0_7LibraryEPNS0_9TableNodeEPKii.private_seg_size, 512+max(.L_Z8CalcMFFCiPN2rw3CutEPiS2_S2_S2_S2_S2_i.private_seg_size, .L_Z4EvaliPiiPN2rw7LibraryEi.private_seg_size, .L__assert_fail.private_seg_size)
	.set _Z16EvaluateNodeWaveiPiS_S_S_S_S_PN2rw3CutES2_S_PNS0_7LibraryEPNS0_9TableNodeEPKii.uses_vcc, or(1, .L_Z8CalcMFFCiPN2rw3CutEPiS2_S2_S2_S2_S2_i.uses_vcc, .L_Z4EvaliPiiPN2rw7LibraryEi.uses_vcc, .L__assert_fail.uses_vcc)
	.set _Z16EvaluateNodeWaveiPiS_S_S_S_S_PN2rw3CutES2_S_PNS0_7LibraryEPNS0_9TableNodeEPKii.uses_flat_scratch, or(1, .L_Z8CalcMFFCiPN2rw3CutEPiS2_S2_S2_S2_S2_i.uses_flat_scratch, .L_Z4EvaliPiiPN2rw7LibraryEi.uses_flat_scratch, .L__assert_fail.uses_flat_scratch)
	.set _Z16EvaluateNodeWaveiPiS_S_S_S_S_PN2rw3CutES2_S_PNS0_7LibraryEPNS0_9TableNodeEPKii.has_dyn_sized_stack, or(0, .L_Z8CalcMFFCiPN2rw3CutEPiS2_S2_S2_S2_S2_i.has_dyn_sized_stack, .L_Z4EvaliPiiPN2rw7LibraryEi.has_dyn_sized_stack, .L__assert_fail.has_dyn_sized_stack)
	.set _Z16EvaluateNodeWaveiPiS_S_S_S_S_PN2rw3CutES2_S_PNS0_7LibraryEPNS0_9TableNodeEPKii.has_recursion, or(1, .L_Z8CalcMFFCiPN2rw3CutEPiS2_S2_S2_S2_S2_i.has_recursion, .L_Z4EvaliPiiPN2rw7LibraryEi.has_recursion, .L__assert_fail.has_recursion)
	.set _Z16EvaluateNodeWaveiPiS_S_S_S_S_PN2rw3CutES2_S_PNS0_7LibraryEPNS0_9TableNodeEPKii.has_indirect_call, or(0, .L_Z8CalcMFFCiPN2rw3CutEPiS2_S2_S2_S2_S2_i.has_indirect_call, .L_Z4EvaliPiiPN2rw7LibraryEi.has_indirect_call, .L__assert_fail.has_indirect_call)
	.section	.AMDGPU.csdata,"",@progbits
; Kernel info:
; codeLenInByte = 5152
; TotalNumSgprs: 107
; NumVgprs: 95
; ScratchSize: 608
; MemoryBound: 0
; FloatMode: 240
; IeeeMode: 1
; LDSByteSize: 0 bytes/workgroup (compile time only)
; SGPRBlocks: 0
; VGPRBlocks: 5
; NumSGPRsForWavesPerEU: 107
; NumVGPRsForWavesPerEU: 95
; NamedBarCnt: 0
; Occupancy: 10
; WaveLimiterHint : 1
; COMPUTE_PGM_RSRC2:SCRATCH_EN: 1
; COMPUTE_PGM_RSRC2:USER_SGPR: 2
; COMPUTE_PGM_RSRC2:TRAP_HANDLER: 0
; COMPUTE_PGM_RSRC2:TGID_X_EN: 1
; COMPUTE_PGM_RSRC2:TGID_Y_EN: 0
; COMPUTE_PGM_RSRC2:TGID_Z_EN: 0
; COMPUTE_PGM_RSRC2:TIDIG_COMP_CNT: 0
	.text
	.p2alignl 7, 3214868480
	.fill 96, 4, 3214868480
	.section	.AMDGPU.gpr_maximums,"",@progbits
	.set amdgpu.max_num_vgpr, 92
	.set amdgpu.max_num_agpr, 0
	.set amdgpu.max_num_sgpr, 38
	.text
	.type	__const.__assert_fail.fmt,@object ; @__const.__assert_fail.fmt
	.section	.rodata.str1.16,"aMS",@progbits,1
	.p2align	4, 0x0
__const.__assert_fail.fmt:
	.asciz	"%s:%u: %s: Device-side assertion `%s' failed.\n"
	.size	__const.__assert_fail.fmt, 47

	.protected	P.managed               ; @P.managed
	.type	P.managed,@object
	.section	.bss,"aw",@nobits
	.globl	P.managed
	.p2align	2, 0x0
P.managed:
	.long	0                               ; 0x0
	.size	P.managed, 4

	.protected	N.managed               ; @N.managed
	.type	N.managed,@object
	.globl	N.managed
	.p2align	2, 0x0
N.managed:
	.long	0                               ; 0x0
	.size	N.managed, 4

	.protected	GPUexpected.managed     ; @GPUexpected.managed
	.type	GPUexpected.managed,@object
	.globl	GPUexpected.managed
	.p2align	2, 0x0
GPUexpected.managed:
	.long	0                               ; 0x0
	.size	GPUexpected.managed, 4

	.protected	replaceHasFullCorrsp.managed ; @replaceHasFullCorrsp.managed
	.type	replaceHasFullCorrsp.managed,@object
	.globl	replaceHasFullCorrsp.managed
	.p2align	2, 0x0
replaceHasFullCorrsp.managed:
	.long	0                               ; 0x0
	.size	replaceHasFullCorrsp.managed, 4

	.type	__const._Z18MinimizeCutSupportPN2rw3CutE.masks,@object ; @__const._Z18MinimizeCutSupportPN2rw3CutE.masks
	.section	.rodata.cst32,"aM",@progbits,32
	.p2align	4, 0x0
__const._Z18MinimizeCutSupportPN2rw3CutE.masks:
	.long	21845                           ; 0x5555
	.long	43690                           ; 0xaaaa
	;; [unrolled: 1-line block ×4, first 2 shown]
	.long	3855                            ; 0xf0f
	.long	61680                           ; 0xf0f0
	.long	255                             ; 0xff
	.long	65280                           ; 0xff00
	.size	__const._Z18MinimizeCutSupportPN2rw3CutE.masks, 32

	.type	.str,@object                    ; @.str
	.section	.rodata.str1.1,"aMS",@progbits,1
.str:
	.asciz	"matchLevel[in0] != -1 && matchLevel[in1] != -1"
	.size	.str, 47

	.type	.str.1,@object                  ; @.str.1
.str.1:
	.asciz	"/root/src/amdgpu-assembly/repos/zjin-lcf__HeCBench/src/logic-rewrite-hip/rewrite.cu"
	.size	.str.1, 84

	.type	__PRETTY_FUNCTION__._Z12EvaluateNodeiPiS_S_S_S_S_PN2rw3CutES2_S_PNS0_7LibraryEPNS0_9TableNodeEi,@object ; @__PRETTY_FUNCTION__._Z12EvaluateNodeiPiS_S_S_S_S_PN2rw3CutES2_S_PNS0_7LibraryEPNS0_9TableNodeEi
__PRETTY_FUNCTION__._Z12EvaluateNodeiPiS_S_S_S_S_PN2rw3CutES2_S_PNS0_7LibraryEPNS0_9TableNodeEi:
	.asciz	"void EvaluateNode(int, int *, int *, int *, int *, int *, int *, Cut *, Cut *, int *, Library *, TableNode *, int)"
	.size	__PRETTY_FUNCTION__._Z12EvaluateNodeiPiS_S_S_S_S_PN2rw3CutES2_S_PNS0_7LibraryEPNS0_9TableNodeEi, 115

	.type	.str.2,@object                  ; @.str.2
.str.2:
	.asciz	"rtLevel != -1"
	.size	.str.2, 14

	.type	.str.3,@object                  ; @.str.3
.str.3:
	.asciz	"cut#%d details: truthtable %d, used%d, nLeaves=%d, leaves=%d %d %d %d\n"
	.size	.str.3, 71

	.type	.str.4,@object                  ; @.str.4
.str.4:
	.asciz	"Selected %d: %d %d\n"
	.size	.str.4, 20

	.type	__PRETTY_FUNCTION__._Z16EvaluateNodeWaveiPiS_S_S_S_S_PN2rw3CutES2_S_PNS0_7LibraryEPNS0_9TableNodeEPKii,@object ; @__PRETTY_FUNCTION__._Z16EvaluateNodeWaveiPiS_S_S_S_S_PN2rw3CutES2_S_PNS0_7LibraryEPNS0_9TableNodeEPKii
__PRETTY_FUNCTION__._Z16EvaluateNodeWaveiPiS_S_S_S_S_PN2rw3CutES2_S_PNS0_7LibraryEPNS0_9TableNodeEPKii:
	.asciz	"void EvaluateNodeWave(int, int *, int *, int *, int *, int *, int *, Cut *, Cut *, int *, Library *, TableNode *, const int *, int)"
	.size	__PRETTY_FUNCTION__._Z16EvaluateNodeWaveiPiS_S_S_S_S_PN2rw3CutES2_S_PNS0_7LibraryEPNS0_9TableNodeEPKii, 132

	.protected	P                       ; @P
	.type	P,@object
	.section	.bss,"aw",@nobits
	.globl	P
	.p2align	3, 0x0
P:
	.quad	0
	.size	P, 8

	.protected	N                       ; @N
	.type	N,@object
	.globl	N
	.p2align	3, 0x0
N:
	.quad	0
	.size	N, 8

	.protected	GPUexpected             ; @GPUexpected
	.type	GPUexpected,@object
	.globl	GPUexpected
	.p2align	3, 0x0
GPUexpected:
	.quad	0
	.size	GPUexpected, 8

	.protected	replaceHasFullCorrsp    ; @replaceHasFullCorrsp
	.type	replaceHasFullCorrsp,@object
	.globl	replaceHasFullCorrsp
	.p2align	3, 0x0
replaceHasFullCorrsp:
	.quad	0
	.size	replaceHasFullCorrsp, 8

	.type	__hip_cuid_938611337eeaffa,@object ; @__hip_cuid_938611337eeaffa
	.globl	__hip_cuid_938611337eeaffa
__hip_cuid_938611337eeaffa:
	.byte	0                               ; 0x0
	.size	__hip_cuid_938611337eeaffa, 1

	.ident	"AMD clang version 22.0.0git (https://github.com/RadeonOpenCompute/llvm-project roc-7.2.4 26084 f58b06dce1f9c15707c5f808fd002e18c2accf7e)"
	.section	".note.GNU-stack","",@progbits
	.addrsig
	.addrsig_sym P.managed
	.addrsig_sym N.managed
	.addrsig_sym GPUexpected.managed
	.addrsig_sym replaceHasFullCorrsp.managed
	.addrsig_sym P
	.addrsig_sym N
	.addrsig_sym GPUexpected
	.addrsig_sym replaceHasFullCorrsp
	.addrsig_sym __hip_cuid_938611337eeaffa
	.amdgpu_metadata
---
amdhsa.kernels:
  - .args:
      - .address_space:  global
        .offset:         0
        .size:           8
        .value_kind:     global_buffer
      - .address_space:  global
        .offset:         8
        .size:           8
        .value_kind:     global_buffer
      - .offset:         16
        .size:           4
        .value_kind:     by_value
      - .offset:         24
        .size:           4
        .value_kind:     hidden_block_count_x
      - .offset:         28
        .size:           4
        .value_kind:     hidden_block_count_y
      - .offset:         32
        .size:           4
        .value_kind:     hidden_block_count_z
      - .offset:         36
        .size:           2
        .value_kind:     hidden_group_size_x
      - .offset:         38
        .size:           2
        .value_kind:     hidden_group_size_y
      - .offset:         40
        .size:           2
        .value_kind:     hidden_group_size_z
      - .offset:         42
        .size:           2
        .value_kind:     hidden_remainder_x
      - .offset:         44
        .size:           2
        .value_kind:     hidden_remainder_y
      - .offset:         46
        .size:           2
        .value_kind:     hidden_remainder_z
      - .offset:         64
        .size:           8
        .value_kind:     hidden_global_offset_x
      - .offset:         72
        .size:           8
        .value_kind:     hidden_global_offset_y
      - .offset:         80
        .size:           8
        .value_kind:     hidden_global_offset_z
      - .offset:         88
        .size:           2
        .value_kind:     hidden_grid_dims
    .group_segment_fixed_size: 0
    .kernarg_segment_align: 8
    .kernarg_segment_size: 280
    .language:       OpenCL C
    .language_version:
      - 2
      - 0
    .max_flat_workgroup_size: 1024
    .name:           _Z6InputsPiPN2rw3CutEi
    .private_segment_fixed_size: 0
    .sgpr_count:     7
    .sgpr_spill_count: 0
    .symbol:         _Z6InputsPiPN2rw3CutEi.kd
    .uniform_work_group_size: 1
    .uses_dynamic_stack: false
    .vgpr_count:     6
    .vgpr_spill_count: 0
    .wavefront_size: 32
  - .args:
      - .address_space:  global
        .offset:         0
        .size:           8
        .value_kind:     global_buffer
      - .address_space:  global
        .offset:         8
        .size:           8
        .value_kind:     global_buffer
      - .address_space:  global
        .offset:         16
        .size:           8
        .value_kind:     global_buffer
      - .address_space:  global
        .offset:         24
        .size:           8
        .value_kind:     global_buffer
      - .address_space:  global
        .offset:         32
        .size:           8
        .value_kind:     global_buffer
      - .address_space:  global
        .offset:         40
        .size:           8
        .value_kind:     global_buffer
      - .offset:         48
        .size:           4
        .value_kind:     by_value
      - .offset:         52
        .size:           4
        .value_kind:     by_value
      - .offset:         56
        .size:           4
        .value_kind:     hidden_block_count_x
      - .offset:         60
        .size:           4
        .value_kind:     hidden_block_count_y
      - .offset:         64
        .size:           4
        .value_kind:     hidden_block_count_z
      - .offset:         68
        .size:           2
        .value_kind:     hidden_group_size_x
      - .offset:         70
        .size:           2
        .value_kind:     hidden_group_size_y
      - .offset:         72
        .size:           2
        .value_kind:     hidden_group_size_z
      - .offset:         74
        .size:           2
        .value_kind:     hidden_remainder_x
      - .offset:         76
        .size:           2
        .value_kind:     hidden_remainder_y
      - .offset:         78
        .size:           2
        .value_kind:     hidden_remainder_z
      - .offset:         96
        .size:           8
        .value_kind:     hidden_global_offset_x
      - .offset:         104
        .size:           8
        .value_kind:     hidden_global_offset_y
      - .offset:         112
        .size:           8
        .value_kind:     hidden_global_offset_z
      - .offset:         120
        .size:           2
        .value_kind:     hidden_grid_dims
    .group_segment_fixed_size: 146432
    .kernarg_segment_align: 8
    .kernarg_segment_size: 312
    .language:       OpenCL C
    .language_version:
      - 2
      - 0
    .max_flat_workgroup_size: 1024
    .name:           _Z12CutEnumeratePiS_S_S_S_PN2rw3CutEii
    .private_segment_fixed_size: 256
    .sgpr_count:     45
    .sgpr_spill_count: 0
    .symbol:         _Z12CutEnumeratePiS_S_S_S_PN2rw3CutEii.kd
    .uniform_work_group_size: 1
    .uses_dynamic_stack: false
    .vgpr_count:     56
    .vgpr_spill_count: 0
    .wavefront_size: 32
  - .args:
      - .offset:         0
        .size:           4
        .value_kind:     by_value
      - .address_space:  global
        .offset:         8
        .size:           8
        .value_kind:     global_buffer
      - .address_space:  global
        .offset:         16
        .size:           8
        .value_kind:     global_buffer
      - .address_space:  global
        .offset:         24
        .size:           8
        .value_kind:     global_buffer
      - .address_space:  global
        .offset:         32
        .size:           8
        .value_kind:     global_buffer
      - .address_space:  global
        .offset:         40
        .size:           8
        .value_kind:     global_buffer
      - .address_space:  global
        .offset:         48
        .size:           8
        .value_kind:     global_buffer
      - .address_space:  global
        .offset:         56
        .size:           8
        .value_kind:     global_buffer
      - .address_space:  global
        .offset:         64
        .size:           8
        .value_kind:     global_buffer
      - .address_space:  global
        .offset:         72
        .size:           8
        .value_kind:     global_buffer
      - .address_space:  global
        .offset:         80
        .size:           8
        .value_kind:     global_buffer
      - .address_space:  global
        .offset:         88
        .size:           8
        .value_kind:     global_buffer
      - .offset:         96
        .size:           4
        .value_kind:     by_value
      - .offset:         104
        .size:           4
        .value_kind:     hidden_block_count_x
      - .offset:         108
        .size:           4
        .value_kind:     hidden_block_count_y
      - .offset:         112
        .size:           4
        .value_kind:     hidden_block_count_z
      - .offset:         116
        .size:           2
        .value_kind:     hidden_group_size_x
      - .offset:         118
        .size:           2
        .value_kind:     hidden_group_size_y
      - .offset:         120
        .size:           2
        .value_kind:     hidden_group_size_z
      - .offset:         122
        .size:           2
        .value_kind:     hidden_remainder_x
      - .offset:         124
        .size:           2
        .value_kind:     hidden_remainder_y
      - .offset:         126
        .size:           2
        .value_kind:     hidden_remainder_z
      - .offset:         144
        .size:           8
        .value_kind:     hidden_global_offset_x
      - .offset:         152
        .size:           8
        .value_kind:     hidden_global_offset_y
      - .offset:         160
        .size:           8
        .value_kind:     hidden_global_offset_z
      - .offset:         168
        .size:           2
        .value_kind:     hidden_grid_dims
      - .offset:         184
        .size:           8
        .value_kind:     hidden_hostcall_buffer
    .group_segment_fixed_size: 0
    .kernarg_segment_align: 8
    .kernarg_segment_size: 360
    .language:       OpenCL C
    .language_version:
      - 2
      - 0
    .max_flat_workgroup_size: 1024
    .name:           _Z12EvaluateNodeiPiS_S_S_S_S_PN2rw3CutES2_S_PNS0_7LibraryEPNS0_9TableNodeEi
    .private_segment_fixed_size: 608
    .sgpr_count:     107
    .sgpr_spill_count: 18
    .symbol:         _Z12EvaluateNodeiPiS_S_S_S_S_PN2rw3CutES2_S_PNS0_7LibraryEPNS0_9TableNodeEi.kd
    .uniform_work_group_size: 1
    .uses_dynamic_stack: true
    .vgpr_count:     94
    .vgpr_spill_count: 0
    .wavefront_size: 32
  - .args:
      - .address_space:  global
        .offset:         0
        .size:           8
        .value_kind:     global_buffer
      - .offset:         8
        .size:           4
        .value_kind:     by_value
      - .address_space:  global
        .offset:         16
        .size:           8
        .value_kind:     global_buffer
      - .address_space:  global
        .offset:         24
        .size:           8
        .value_kind:     global_buffer
      - .address_space:  global
        .offset:         32
        .size:           8
        .value_kind:     global_buffer
      - .address_space:  global
        .offset:         40
        .size:           8
        .value_kind:     global_buffer
      - .offset:         48
        .size:           4
        .value_kind:     hidden_block_count_x
      - .offset:         52
        .size:           4
        .value_kind:     hidden_block_count_y
      - .offset:         56
        .size:           4
        .value_kind:     hidden_block_count_z
      - .offset:         60
        .size:           2
        .value_kind:     hidden_group_size_x
      - .offset:         62
        .size:           2
        .value_kind:     hidden_group_size_y
      - .offset:         64
        .size:           2
        .value_kind:     hidden_group_size_z
      - .offset:         66
        .size:           2
        .value_kind:     hidden_remainder_x
      - .offset:         68
        .size:           2
        .value_kind:     hidden_remainder_y
      - .offset:         70
        .size:           2
        .value_kind:     hidden_remainder_z
      - .offset:         88
        .size:           8
        .value_kind:     hidden_global_offset_x
      - .offset:         96
        .size:           8
        .value_kind:     hidden_global_offset_y
      - .offset:         104
        .size:           8
        .value_kind:     hidden_global_offset_z
      - .offset:         112
        .size:           2
        .value_kind:     hidden_grid_dims
    .group_segment_fixed_size: 0
    .kernarg_segment_align: 8
    .kernarg_segment_size: 304
    .language:       OpenCL C
    .language_version:
      - 2
      - 0
    .max_flat_workgroup_size: 1024
    .name:           _Z14BuildHashTablePN2rw9TableNodeEiPiS2_S2_S2_
    .private_segment_fixed_size: 0
    .sgpr_count:     22
    .sgpr_spill_count: 0
    .symbol:         _Z14BuildHashTablePN2rw9TableNodeEiPiS2_S2_S2_.kd
    .uniform_work_group_size: 1
    .uses_dynamic_stack: false
    .vgpr_count:     14
    .vgpr_spill_count: 0
    .wavefront_size: 32
  - .args:
      - .offset:         0
        .size:           4
        .value_kind:     by_value
      - .address_space:  global
        .offset:         8
        .size:           8
        .value_kind:     global_buffer
      - .address_space:  global
        .offset:         16
        .size:           8
        .value_kind:     global_buffer
      - .address_space:  global
        .offset:         24
        .size:           8
        .value_kind:     global_buffer
      - .address_space:  global
        .offset:         32
        .size:           8
        .value_kind:     global_buffer
      - .address_space:  global
        .offset:         40
        .size:           8
        .value_kind:     global_buffer
      - .address_space:  global
        .offset:         48
        .size:           8
        .value_kind:     global_buffer
      - .address_space:  global
        .offset:         56
        .size:           8
        .value_kind:     global_buffer
      - .address_space:  global
        .offset:         64
        .size:           8
        .value_kind:     global_buffer
      - .address_space:  global
        .offset:         72
        .size:           8
        .value_kind:     global_buffer
      - .address_space:  global
        .offset:         80
        .size:           8
        .value_kind:     global_buffer
      - .address_space:  global
        .offset:         88
        .size:           8
        .value_kind:     global_buffer
      - .offset:         96
        .size:           4
        .value_kind:     hidden_block_count_x
      - .offset:         100
        .size:           4
        .value_kind:     hidden_block_count_y
      - .offset:         104
        .size:           4
        .value_kind:     hidden_block_count_z
      - .offset:         108
        .size:           2
        .value_kind:     hidden_group_size_x
      - .offset:         110
        .size:           2
        .value_kind:     hidden_group_size_y
      - .offset:         112
        .size:           2
        .value_kind:     hidden_group_size_z
      - .offset:         114
        .size:           2
        .value_kind:     hidden_remainder_x
      - .offset:         116
        .size:           2
        .value_kind:     hidden_remainder_y
      - .offset:         118
        .size:           2
        .value_kind:     hidden_remainder_z
      - .offset:         136
        .size:           8
        .value_kind:     hidden_global_offset_x
      - .offset:         144
        .size:           8
        .value_kind:     hidden_global_offset_y
      - .offset:         152
        .size:           8
        .value_kind:     hidden_global_offset_z
      - .offset:         160
        .size:           2
        .value_kind:     hidden_grid_dims
    .group_segment_fixed_size: 0
    .kernarg_segment_align: 8
    .kernarg_segment_size: 352
    .language:       OpenCL C
    .language_version:
      - 2
      - 0
    .max_flat_workgroup_size: 1024
    .name:           _Z12ReplaceSubgriPiS_S_S_S_PN2rw3CutEPNS0_7LibraryEPNS0_9TableNodeES6_S_S_
    .private_segment_fixed_size: 384
    .sgpr_count:     54
    .sgpr_spill_count: 0
    .symbol:         _Z12ReplaceSubgriPiS_S_S_S_PN2rw3CutEPNS0_7LibraryEPNS0_9TableNodeES6_S_S_.kd
    .uniform_work_group_size: 1
    .uses_dynamic_stack: true
    .vgpr_count:     92
    .vgpr_spill_count: 0
    .wavefront_size: 32
  - .args:
      - .offset:         0
        .size:           4
        .value_kind:     by_value
      - .address_space:  global
        .offset:         8
        .size:           8
        .value_kind:     global_buffer
      - .address_space:  global
        .offset:         16
        .size:           8
        .value_kind:     global_buffer
      - .address_space:  global
        .offset:         24
        .size:           8
        .value_kind:     global_buffer
      - .offset:         32
        .size:           4
        .value_kind:     hidden_block_count_x
      - .offset:         36
        .size:           4
        .value_kind:     hidden_block_count_y
      - .offset:         40
        .size:           4
        .value_kind:     hidden_block_count_z
      - .offset:         44
        .size:           2
        .value_kind:     hidden_group_size_x
      - .offset:         46
        .size:           2
        .value_kind:     hidden_group_size_y
      - .offset:         48
        .size:           2
        .value_kind:     hidden_group_size_z
      - .offset:         50
        .size:           2
        .value_kind:     hidden_remainder_x
      - .offset:         52
        .size:           2
        .value_kind:     hidden_remainder_y
      - .offset:         54
        .size:           2
        .value_kind:     hidden_remainder_z
      - .offset:         72
        .size:           8
        .value_kind:     hidden_global_offset_x
      - .offset:         80
        .size:           8
        .value_kind:     hidden_global_offset_y
      - .offset:         88
        .size:           8
        .value_kind:     hidden_global_offset_z
      - .offset:         96
        .size:           2
        .value_kind:     hidden_grid_dims
    .group_segment_fixed_size: 0
    .kernarg_segment_align: 8
    .kernarg_segment_size: 288
    .language:       OpenCL C
    .language_version:
      - 2
      - 0
    .max_flat_workgroup_size: 1024
    .name:           _Z15DetachAndAttachiPiS_S_
    .private_segment_fixed_size: 0
    .sgpr_count:     10
    .sgpr_spill_count: 0
    .symbol:         _Z15DetachAndAttachiPiS_S_.kd
    .uniform_work_group_size: 1
    .uses_dynamic_stack: false
    .vgpr_count:     7
    .vgpr_spill_count: 0
    .wavefront_size: 32
  - .args:
      - .offset:         0
        .size:           4
        .value_kind:     by_value
      - .address_space:  global
        .offset:         8
        .size:           8
        .value_kind:     global_buffer
      - .offset:         16
        .size:           4
        .value_kind:     hidden_block_count_x
      - .offset:         20
        .size:           4
        .value_kind:     hidden_block_count_y
      - .offset:         24
        .size:           4
        .value_kind:     hidden_block_count_z
      - .offset:         28
        .size:           2
        .value_kind:     hidden_group_size_x
      - .offset:         30
        .size:           2
        .value_kind:     hidden_group_size_y
      - .offset:         32
        .size:           2
        .value_kind:     hidden_group_size_z
      - .offset:         34
        .size:           2
        .value_kind:     hidden_remainder_x
      - .offset:         36
        .size:           2
        .value_kind:     hidden_remainder_y
      - .offset:         38
        .size:           2
        .value_kind:     hidden_remainder_z
      - .offset:         56
        .size:           8
        .value_kind:     hidden_global_offset_x
      - .offset:         64
        .size:           8
        .value_kind:     hidden_global_offset_y
      - .offset:         72
        .size:           8
        .value_kind:     hidden_global_offset_z
      - .offset:         80
        .size:           2
        .value_kind:     hidden_grid_dims
      - .offset:         96
        .size:           8
        .value_kind:     hidden_hostcall_buffer
    .group_segment_fixed_size: 0
    .kernarg_segment_align: 8
    .kernarg_segment_size: 272
    .language:       OpenCL C
    .language_version:
      - 2
      - 0
    .max_flat_workgroup_size: 1024
    .name:           _Z9printCutsiPN2rw3CutE
    .private_segment_fixed_size: 0
    .sgpr_count:     32
    .sgpr_spill_count: 0
    .symbol:         _Z9printCutsiPN2rw3CutE.kd
    .uniform_work_group_size: 1
    .uses_dynamic_stack: false
    .vgpr_count:     48
    .vgpr_spill_count: 0
    .wavefront_size: 32
  - .args:
      - .address_space:  global
        .offset:         0
        .size:           8
        .value_kind:     global_buffer
      - .address_space:  global
        .offset:         8
        .size:           8
        .value_kind:     global_buffer
      - .offset:         16
        .size:           4
        .value_kind:     by_value
      - .offset:         24
        .size:           4
        .value_kind:     hidden_block_count_x
      - .offset:         28
        .size:           4
        .value_kind:     hidden_block_count_y
      - .offset:         32
        .size:           4
        .value_kind:     hidden_block_count_z
      - .offset:         36
        .size:           2
        .value_kind:     hidden_group_size_x
      - .offset:         38
        .size:           2
        .value_kind:     hidden_group_size_y
      - .offset:         40
        .size:           2
        .value_kind:     hidden_group_size_z
      - .offset:         42
        .size:           2
        .value_kind:     hidden_remainder_x
      - .offset:         44
        .size:           2
        .value_kind:     hidden_remainder_y
      - .offset:         46
        .size:           2
        .value_kind:     hidden_remainder_z
      - .offset:         64
        .size:           8
        .value_kind:     hidden_global_offset_x
      - .offset:         72
        .size:           8
        .value_kind:     hidden_global_offset_y
      - .offset:         80
        .size:           8
        .value_kind:     hidden_global_offset_z
      - .offset:         88
        .size:           2
        .value_kind:     hidden_grid_dims
    .group_segment_fixed_size: 0
    .kernarg_segment_align: 8
    .kernarg_segment_size: 280
    .language:       OpenCL C
    .language_version:
      - 2
      - 0
    .max_flat_workgroup_size: 1024
    .name:           _Z7ConvertPiS_i
    .private_segment_fixed_size: 0
    .sgpr_count:     7
    .sgpr_spill_count: 0
    .symbol:         _Z7ConvertPiS_i.kd
    .uniform_work_group_size: 1
    .uses_dynamic_stack: false
    .vgpr_count:     2
    .vgpr_spill_count: 0
    .wavefront_size: 32
  - .args:
      - .address_space:  global
        .offset:         0
        .size:           8
        .value_kind:     global_buffer
      - .address_space:  global
        .offset:         8
        .size:           8
        .value_kind:     global_buffer
      - .offset:         16
        .size:           4
        .value_kind:     by_value
      - .offset:         24
        .size:           4
        .value_kind:     hidden_block_count_x
      - .offset:         28
        .size:           4
        .value_kind:     hidden_block_count_y
      - .offset:         32
        .size:           4
        .value_kind:     hidden_block_count_z
      - .offset:         36
        .size:           2
        .value_kind:     hidden_group_size_x
      - .offset:         38
        .size:           2
        .value_kind:     hidden_group_size_y
      - .offset:         40
        .size:           2
        .value_kind:     hidden_group_size_z
      - .offset:         42
        .size:           2
        .value_kind:     hidden_remainder_x
      - .offset:         44
        .size:           2
        .value_kind:     hidden_remainder_y
      - .offset:         46
        .size:           2
        .value_kind:     hidden_remainder_z
      - .offset:         64
        .size:           8
        .value_kind:     hidden_global_offset_x
      - .offset:         72
        .size:           8
        .value_kind:     hidden_global_offset_y
      - .offset:         80
        .size:           8
        .value_kind:     hidden_global_offset_z
      - .offset:         88
        .size:           2
        .value_kind:     hidden_grid_dims
    .group_segment_fixed_size: 0
    .kernarg_segment_align: 8
    .kernarg_segment_size: 280
    .language:       OpenCL C
    .language_version:
      - 2
      - 0
    .max_flat_workgroup_size: 1024
    .name:           _Z6RevertPiS_i
    .private_segment_fixed_size: 0
    .sgpr_count:     7
    .sgpr_spill_count: 0
    .symbol:         _Z6RevertPiS_i.kd
    .uniform_work_group_size: 1
    .uses_dynamic_stack: false
    .vgpr_count:     3
    .vgpr_spill_count: 0
    .wavefront_size: 32
  - .args:
      - .offset:         0
        .size:           4
        .value_kind:     by_value
      - .address_space:  global
        .offset:         8
        .size:           8
        .value_kind:     global_buffer
      - .address_space:  global
        .offset:         16
        .size:           8
        .value_kind:     global_buffer
      - .offset:         24
        .size:           4
        .value_kind:     hidden_block_count_x
      - .offset:         28
        .size:           4
        .value_kind:     hidden_block_count_y
      - .offset:         32
        .size:           4
        .value_kind:     hidden_block_count_z
      - .offset:         36
        .size:           2
        .value_kind:     hidden_group_size_x
      - .offset:         38
        .size:           2
        .value_kind:     hidden_group_size_y
      - .offset:         40
        .size:           2
        .value_kind:     hidden_group_size_z
      - .offset:         42
        .size:           2
        .value_kind:     hidden_remainder_x
      - .offset:         44
        .size:           2
        .value_kind:     hidden_remainder_y
      - .offset:         46
        .size:           2
        .value_kind:     hidden_remainder_z
      - .offset:         64
        .size:           8
        .value_kind:     hidden_global_offset_x
      - .offset:         72
        .size:           8
        .value_kind:     hidden_global_offset_y
      - .offset:         80
        .size:           8
        .value_kind:     hidden_global_offset_z
      - .offset:         88
        .size:           2
        .value_kind:     hidden_grid_dims
      - .offset:         104
        .size:           8
        .value_kind:     hidden_hostcall_buffer
    .group_segment_fixed_size: 0
    .kernarg_segment_align: 8
    .kernarg_segment_size: 280
    .language:       OpenCL C
    .language_version:
      - 2
      - 0
    .max_flat_workgroup_size: 1024
    .name:           _Z5printiPN2rw3CutEPi
    .private_segment_fixed_size: 0
    .sgpr_count:     30
    .sgpr_spill_count: 0
    .symbol:         _Z5printiPN2rw3CutEPi.kd
    .uniform_work_group_size: 1
    .uses_dynamic_stack: false
    .vgpr_count:     39
    .vgpr_spill_count: 0
    .wavefront_size: 32
  - .args:
      - .offset:         0
        .size:           4
        .value_kind:     by_value
      - .address_space:  global
        .offset:         8
        .size:           8
        .value_kind:     global_buffer
      - .address_space:  global
        .offset:         16
        .size:           8
        .value_kind:     global_buffer
      - .address_space:  global
        .offset:         24
        .size:           8
        .value_kind:     global_buffer
      - .address_space:  global
        .offset:         32
        .size:           8
        .value_kind:     global_buffer
      - .address_space:  global
        .offset:         40
        .size:           8
        .value_kind:     global_buffer
      - .address_space:  global
        .offset:         48
        .size:           8
        .value_kind:     global_buffer
      - .address_space:  global
        .offset:         56
        .size:           8
        .value_kind:     global_buffer
      - .address_space:  global
        .offset:         64
        .size:           8
        .value_kind:     global_buffer
      - .address_space:  global
        .offset:         72
        .size:           8
        .value_kind:     global_buffer
      - .address_space:  global
        .offset:         80
        .size:           8
        .value_kind:     global_buffer
      - .address_space:  global
        .offset:         88
        .size:           8
        .value_kind:     global_buffer
      - .address_space:  global
        .offset:         96
        .size:           8
        .value_kind:     global_buffer
      - .offset:         104
        .size:           4
        .value_kind:     by_value
      - .offset:         112
        .size:           4
        .value_kind:     hidden_block_count_x
      - .offset:         116
        .size:           4
        .value_kind:     hidden_block_count_y
      - .offset:         120
        .size:           4
        .value_kind:     hidden_block_count_z
      - .offset:         124
        .size:           2
        .value_kind:     hidden_group_size_x
      - .offset:         126
        .size:           2
        .value_kind:     hidden_group_size_y
      - .offset:         128
        .size:           2
        .value_kind:     hidden_group_size_z
      - .offset:         130
        .size:           2
        .value_kind:     hidden_remainder_x
      - .offset:         132
        .size:           2
        .value_kind:     hidden_remainder_y
      - .offset:         134
        .size:           2
        .value_kind:     hidden_remainder_z
      - .offset:         152
        .size:           8
        .value_kind:     hidden_global_offset_x
      - .offset:         160
        .size:           8
        .value_kind:     hidden_global_offset_y
      - .offset:         168
        .size:           8
        .value_kind:     hidden_global_offset_z
      - .offset:         176
        .size:           2
        .value_kind:     hidden_grid_dims
      - .offset:         192
        .size:           8
        .value_kind:     hidden_hostcall_buffer
    .group_segment_fixed_size: 0
    .kernarg_segment_align: 8
    .kernarg_segment_size: 368
    .language:       OpenCL C
    .language_version:
      - 2
      - 0
    .max_flat_workgroup_size: 1024
    .name:           _Z16EvaluateNodeWaveiPiS_S_S_S_S_PN2rw3CutES2_S_PNS0_7LibraryEPNS0_9TableNodeEPKii
    .private_segment_fixed_size: 608
    .sgpr_count:     107
    .sgpr_spill_count: 21
    .symbol:         _Z16EvaluateNodeWaveiPiS_S_S_S_S_PN2rw3CutES2_S_PNS0_7LibraryEPNS0_9TableNodeEPKii.kd
    .uniform_work_group_size: 1
    .uses_dynamic_stack: true
    .vgpr_count:     95
    .vgpr_spill_count: 0
    .wavefront_size: 32
amdhsa.target:   amdgcn-amd-amdhsa--gfx1250
amdhsa.version:
  - 1
  - 2
...

	.end_amdgpu_metadata
